;; amdgpu-corpus repo=ROCm/rocSOLVER kind=compiled arch=gfx90a opt=O3
	.text
	.amdgcn_target "amdgcn-amd-amdhsa--gfx90a"
	.amdhsa_code_object_version 6
	.section	.text._ZN9rocsolver6v33100L10reset_infoIiiiEEvPT_T0_T1_S4_,"axG",@progbits,_ZN9rocsolver6v33100L10reset_infoIiiiEEvPT_T0_T1_S4_,comdat
	.globl	_ZN9rocsolver6v33100L10reset_infoIiiiEEvPT_T0_T1_S4_ ; -- Begin function _ZN9rocsolver6v33100L10reset_infoIiiiEEvPT_T0_T1_S4_
	.p2align	8
	.type	_ZN9rocsolver6v33100L10reset_infoIiiiEEvPT_T0_T1_S4_,@function
_ZN9rocsolver6v33100L10reset_infoIiiiEEvPT_T0_T1_S4_: ; @_ZN9rocsolver6v33100L10reset_infoIiiiEEvPT_T0_T1_S4_
; %bb.0:
	s_load_dword s7, s[4:5], 0x24
	s_load_dwordx4 s[0:3], s[4:5], 0x8
	s_waitcnt lgkmcnt(0)
	s_and_b32 s3, s7, 0xffff
	s_mul_i32 s6, s6, s3
	v_add_u32_e32 v0, s6, v0
	v_cmp_gt_i32_e32 vcc, s0, v0
	s_and_saveexec_b64 s[6:7], vcc
	s_cbranch_execz .LBB0_2
; %bb.1:
	s_load_dwordx2 s[4:5], s[4:5], 0x0
	v_ashrrev_i32_e32 v1, 31, v0
	v_lshlrev_b64 v[2:3], 2, v[0:1]
	v_mul_lo_u32 v0, v0, s2
	v_add_u32_e32 v0, s1, v0
	s_waitcnt lgkmcnt(0)
	v_mov_b32_e32 v1, s5
	v_add_co_u32_e32 v2, vcc, s4, v2
	v_addc_co_u32_e32 v3, vcc, v1, v3, vcc
	global_store_dword v[2:3], v0, off
.LBB0_2:
	s_endpgm
	.section	.rodata,"a",@progbits
	.p2align	6, 0x0
	.amdhsa_kernel _ZN9rocsolver6v33100L10reset_infoIiiiEEvPT_T0_T1_S4_
		.amdhsa_group_segment_fixed_size 0
		.amdhsa_private_segment_fixed_size 0
		.amdhsa_kernarg_size 280
		.amdhsa_user_sgpr_count 6
		.amdhsa_user_sgpr_private_segment_buffer 1
		.amdhsa_user_sgpr_dispatch_ptr 0
		.amdhsa_user_sgpr_queue_ptr 0
		.amdhsa_user_sgpr_kernarg_segment_ptr 1
		.amdhsa_user_sgpr_dispatch_id 0
		.amdhsa_user_sgpr_flat_scratch_init 0
		.amdhsa_user_sgpr_kernarg_preload_length 0
		.amdhsa_user_sgpr_kernarg_preload_offset 0
		.amdhsa_user_sgpr_private_segment_size 0
		.amdhsa_uses_dynamic_stack 0
		.amdhsa_system_sgpr_private_segment_wavefront_offset 0
		.amdhsa_system_sgpr_workgroup_id_x 1
		.amdhsa_system_sgpr_workgroup_id_y 0
		.amdhsa_system_sgpr_workgroup_id_z 0
		.amdhsa_system_sgpr_workgroup_info 0
		.amdhsa_system_vgpr_workitem_id 0
		.amdhsa_next_free_vgpr 4
		.amdhsa_next_free_sgpr 8
		.amdhsa_accum_offset 4
		.amdhsa_reserve_vcc 1
		.amdhsa_reserve_flat_scratch 0
		.amdhsa_float_round_mode_32 0
		.amdhsa_float_round_mode_16_64 0
		.amdhsa_float_denorm_mode_32 3
		.amdhsa_float_denorm_mode_16_64 3
		.amdhsa_dx10_clamp 1
		.amdhsa_ieee_mode 1
		.amdhsa_fp16_overflow 0
		.amdhsa_tg_split 0
		.amdhsa_exception_fp_ieee_invalid_op 0
		.amdhsa_exception_fp_denorm_src 0
		.amdhsa_exception_fp_ieee_div_zero 0
		.amdhsa_exception_fp_ieee_overflow 0
		.amdhsa_exception_fp_ieee_underflow 0
		.amdhsa_exception_fp_ieee_inexact 0
		.amdhsa_exception_int_div_zero 0
	.end_amdhsa_kernel
	.section	.text._ZN9rocsolver6v33100L10reset_infoIiiiEEvPT_T0_T1_S4_,"axG",@progbits,_ZN9rocsolver6v33100L10reset_infoIiiiEEvPT_T0_T1_S4_,comdat
.Lfunc_end0:
	.size	_ZN9rocsolver6v33100L10reset_infoIiiiEEvPT_T0_T1_S4_, .Lfunc_end0-_ZN9rocsolver6v33100L10reset_infoIiiiEEvPT_T0_T1_S4_
                                        ; -- End function
	.section	.AMDGPU.csdata,"",@progbits
; Kernel info:
; codeLenInByte = 108
; NumSgprs: 12
; NumVgprs: 4
; NumAgprs: 0
; TotalNumVgprs: 4
; ScratchSize: 0
; MemoryBound: 0
; FloatMode: 240
; IeeeMode: 1
; LDSByteSize: 0 bytes/workgroup (compile time only)
; SGPRBlocks: 1
; VGPRBlocks: 0
; NumSGPRsForWavesPerEU: 12
; NumVGPRsForWavesPerEU: 4
; AccumOffset: 4
; Occupancy: 8
; WaveLimiterHint : 0
; COMPUTE_PGM_RSRC2:SCRATCH_EN: 0
; COMPUTE_PGM_RSRC2:USER_SGPR: 6
; COMPUTE_PGM_RSRC2:TRAP_HANDLER: 0
; COMPUTE_PGM_RSRC2:TGID_X_EN: 1
; COMPUTE_PGM_RSRC2:TGID_Y_EN: 0
; COMPUTE_PGM_RSRC2:TGID_Z_EN: 0
; COMPUTE_PGM_RSRC2:TIDIG_COMP_CNT: 0
; COMPUTE_PGM_RSRC3_GFX90A:ACCUM_OFFSET: 0
; COMPUTE_PGM_RSRC3_GFX90A:TG_SPLIT: 0
	.section	.text._ZN9rocsolver6v33100L18lasyf_kernel_upperIfPfEEviiPiT0_iilS3_lS3_PT_,"axG",@progbits,_ZN9rocsolver6v33100L18lasyf_kernel_upperIfPfEEviiPiT0_iilS3_lS3_PT_,comdat
	.globl	_ZN9rocsolver6v33100L18lasyf_kernel_upperIfPfEEviiPiT0_iilS3_lS3_PT_ ; -- Begin function _ZN9rocsolver6v33100L18lasyf_kernel_upperIfPfEEviiPiT0_iilS3_lS3_PT_
	.p2align	8
	.type	_ZN9rocsolver6v33100L18lasyf_kernel_upperIfPfEEviiPiT0_iilS3_lS3_PT_,@function
_ZN9rocsolver6v33100L18lasyf_kernel_upperIfPfEEviiPiT0_iilS3_lS3_PT_: ; @_ZN9rocsolver6v33100L18lasyf_kernel_upperIfPfEEviiPiT0_iilS3_lS3_PT_
; %bb.0:
	s_mov_b32 s34, s7
	v_cmp_eq_u32_e64 s[0:1], 0, v0
	s_and_saveexec_b64 s[2:3], s[0:1]
	s_cbranch_execz .LBB1_2
; %bb.1:
	v_mov_b32_e32 v1, 0
	ds_write_b32 v1, v1 offset:2052
.LBB1_2:
	s_or_b64 exec, exec, s[2:3]
	s_load_dwordx2 s[20:21], s[4:5], 0x18
	s_load_dwordx2 s[22:23], s[4:5], 0x0
	s_load_dwordx4 s[16:19], s[4:5], 0x8
	s_load_dwordx8 s[8:15], s[4:5], 0x20
	s_load_dwordx2 s[24:25], s[4:5], 0x40
	s_ashr_i32 s35, s34, 31
	s_waitcnt lgkmcnt(0)
	s_ashr_i32 s3, s20, 31
	s_mov_b32 s2, s20
	s_mul_i32 s4, s34, s9
	s_mul_hi_u32 s5, s34, s8
	s_add_i32 s4, s5, s4
	s_mul_i32 s5, s35, s8
	s_add_i32 s5, s4, s5
	s_mul_i32 s4, s34, s8
	s_lshl_b64 s[26:27], s[4:5], 2
	s_add_u32 s4, s18, s26
	s_addc_u32 s5, s19, s27
	s_lshl_b64 s[28:29], s[2:3], 2
	s_mul_i32 s2, s34, s22
	s_add_u32 s20, s4, s28
	s_mul_i32 s2, s2, s23
	s_addc_u32 s33, s5, s29
	s_ashr_i32 s3, s2, 31
	s_lshl_b64 s[30:31], s[2:3], 2
	s_add_u32 s55, s24, s30
	s_mul_i32 s2, s34, s13
	s_mul_hi_u32 s3, s34, s12
	s_addc_u32 s56, s25, s31
	s_add_i32 s2, s3, s2
	s_mul_i32 s3, s35, s12
	s_add_i32 s3, s2, s3
	s_mul_i32 s2, s34, s12
	s_lshl_b64 s[2:3], s[2:3], 2
	s_add_u32 s52, s10, s2
	s_addc_u32 s53, s11, s3
	s_add_i32 s54, s22, -1
	s_cmp_lt_i32 s54, 0
	v_lshlrev_b32_e32 v12, 2, v0
	v_add_u32_e32 v1, 1, v0
	s_mov_b32 s6, s23
	s_mov_b32 s36, s54
	s_cbranch_scc1 .LBB1_213
; %bb.3:
	s_sub_i32 s57, s23, s22
	s_add_i32 s77, s23, -1
	s_sub_i32 s58, s22, s23
	s_cmp_eq_u32 s23, s22
	s_cselect_b64 s[6:7], -1, 0
	s_add_i32 s60, s21, 1
	s_lshl_b32 s61, s22, 1
	s_add_u32 s62, s20, 4
	s_addc_u32 s63, s33, 0
	s_add_u32 s64, s55, 4
	s_addc_u32 s65, s56, 0
	s_add_u32 s66, s55, -4
	s_addc_u32 s67, s56, -1
	s_add_u32 s68, s20, -4
	s_addc_u32 s69, s33, -1
	s_add_u32 s70, s24, s30
	s_addc_u32 s71, s25, s31
	s_add_u32 s8, s26, s28
	s_addc_u32 s9, s27, s29
	;; [unrolled: 2-line block ×3, first 2 shown]
	v_mov_b32_e32 v14, s73
	v_add_co_u32_e32 v15, vcc, s72, v12
	v_addc_co_u32_e32 v16, vcc, 0, v14, vcc
	s_ashr_i32 s9, s22, 31
	s_mov_b32 s8, s22
	v_mov_b32_e32 v17, s71
	v_add_co_u32_e32 v18, vcc, s70, v12
	s_lshl_b64 s[38:39], s[8:9], 2
	s_ashr_i32 s9, s21, 31
	s_mov_b32 s8, s21
	v_addc_co_u32_e32 v19, vcc, 0, v17, vcc
	v_add_u32_e32 v2, s23, v0
	s_movk_i32 s2, 0x80
	s_lshl_b64 s[40:41], s[8:9], 2
	v_add_co_u32_e32 v20, vcc, 4, v18
	v_subrev_u32_e32 v2, s22, v2
	s_movk_i32 s59, 0x400
	v_or_b32_e32 v13, 0x400, v12
	v_cmp_gt_u32_e64 s[2:3], s2, v0
	v_cmp_gt_u32_e64 s[4:5], 64, v0
	v_mov_b32_e32 v3, 0
	s_lshl_b32 s74, s21, 8
	v_addc_co_u32_e32 v21, vcc, 0, v19, vcc
	v_add_u32_e32 v22, 1, v2
	s_lshl_b32 s75, s22, 8
	s_mov_b32 s37, 0
	v_mov_b32_e32 v23, s41
	s_brev_b32 s76, -2
	s_xor_b64 s[42:43], s[6:7], -1
	s_mov_b32 s36, s54
	s_branch .LBB1_5
.LBB1_4:                                ;   in Loop: Header=BB1_5 Depth=1
	s_or_b64 exec, exec, s[6:7]
	s_add_i32 s36, s12, s36
	s_add_i32 s77, s36, s57
	s_cmp_lt_i32 s36, 0
	s_cselect_b64 s[6:7], -1, 0
	s_and_b64 vcc, exec, s[6:7]
	s_cbranch_vccnz .LBB1_212
.LBB1_5:                                ; =>This Loop Header: Depth=1
                                        ;     Child Loop BB1_8 Depth 2
                                        ;     Child Loop BB1_15 Depth 2
                                        ;       Child Loop BB1_17 Depth 3
                                        ;     Child Loop BB1_22 Depth 2
                                        ;     Child Loop BB1_65 Depth 2
	;; [unrolled: 1-line block ×4, first 2 shown]
                                        ;       Child Loop BB1_77 Depth 3
                                        ;     Child Loop BB1_82 Depth 2
                                        ;     Child Loop BB1_124 Depth 2
	;; [unrolled: 1-line block ×9, first 2 shown]
	s_cmp_le_i32 s36, s58
	s_cselect_b64 s[6:7], -1, 0
	s_and_b64 s[6:7], s[42:43], s[6:7]
	s_and_b64 vcc, exec, s[6:7]
	s_cbranch_vccnz .LBB1_18
; %bb.6:                                ;   in Loop: Header=BB1_5 Depth=1
	v_cmp_ge_i32_e64 s[8:9], s36, v0
	s_and_saveexec_b64 s[6:7], s[8:9]
	s_cbranch_execz .LBB1_9
; %bb.7:                                ;   in Loop: Header=BB1_5 Depth=1
	s_mul_i32 s11, s77, s22
	v_add_u32_e32 v4, s11, v0
	s_mul_i32 s10, s36, s21
	v_ashrrev_i32_e32 v5, 31, v4
	v_lshlrev_b64 v[4:5], 2, v[4:5]
	v_add_u32_e32 v6, s10, v0
	v_add_co_u32_e32 v4, vcc, s70, v4
	v_ashrrev_i32_e32 v7, 31, v6
	v_addc_co_u32_e32 v5, vcc, v17, v5, vcc
	v_lshlrev_b64 v[6:7], 2, v[6:7]
	v_add_co_u32_e32 v6, vcc, s72, v6
	v_addc_co_u32_e32 v7, vcc, v14, v7, vcc
	s_mov_b64 s[10:11], 0
	s_waitcnt vmcnt(0)
	v_mov_b32_e32 v2, v0
.LBB1_8:                                ;   Parent Loop BB1_5 Depth=1
                                        ; =>  This Inner Loop Header: Depth=2
	global_load_dword v8, v[6:7], off
	v_add_u32_e32 v2, 0x100, v2
	v_cmp_lt_i32_e32 vcc, s36, v2
	s_or_b64 s[10:11], vcc, s[10:11]
	s_waitcnt vmcnt(0)
	global_store_dword v[4:5], v8, off
	v_add_co_u32_e32 v4, vcc, 0x400, v4
	v_addc_co_u32_e32 v5, vcc, 0, v5, vcc
	v_add_co_u32_e32 v6, vcc, 0x400, v6
	v_addc_co_u32_e32 v7, vcc, 0, v7, vcc
	s_andn2_b64 exec, exec, s[10:11]
	s_cbranch_execnz .LBB1_8
.LBB1_9:                                ;   in Loop: Header=BB1_5 Depth=1
	s_or_b64 exec, exec, s[6:7]
	s_cmp_ge_i32 s36, s54
	s_cselect_b64 s[46:47], -1, 0
	s_cmp_lt_i32 s36, s54
	s_mov_b64 s[6:7], -1
	s_barrier
	s_waitcnt lgkmcnt(0)
                                        ; implicit-def: $sgpr44
	s_cbranch_scc1 .LBB1_11
; %bb.10:                               ;   in Loop: Header=BB1_5 Depth=1
	s_mul_i32 s44, s77, s22
	s_ashr_i32 s45, s44, 31
	s_mov_b64 s[6:7], 0
.LBB1_11:                               ;   in Loop: Header=BB1_5 Depth=1
	s_andn2_b64 vcc, exec, s[6:7]
	s_cbranch_vccnz .LBB1_20
; %bb.12:                               ;   in Loop: Header=BB1_5 Depth=1
	s_mul_i32 s44, s77, s22
	s_ashr_i32 s45, s44, 31
	s_and_saveexec_b64 s[10:11], s[8:9]
	s_cbranch_execz .LBB1_19
; %bb.13:                               ;   in Loop: Header=BB1_5 Depth=1
	s_add_i32 s6, s36, 1
	s_not_b32 s78, s36
	s_mul_i32 s6, s6, s21
	s_add_i32 s78, s78, s22
	s_ashr_i32 s7, s6, 31
	s_lshl_b64 s[12:13], s[36:37], 2
	s_add_u32 s48, s55, s12
	s_addc_u32 s49, s56, s13
	s_add_i32 s12, s77, 1
	s_mul_i32 s12, s12, s22
	s_ashr_i32 s13, s12, 31
	s_lshl_b64 s[12:13], s[12:13], 2
	s_add_u32 s12, s48, s12
	s_addc_u32 s13, s49, s13
	s_lshl_b64 s[48:49], s[44:45], 2
	s_add_u32 s79, s55, s48
	s_addc_u32 s80, s56, s49
	s_cmp_gt_i32 s78, 0
	s_cselect_b64 s[48:49], -1, 0
	s_lshl_b64 s[6:7], s[6:7], 2
	s_waitcnt vmcnt(0)
	v_mov_b32_e32 v2, s7
	v_add_co_u32_e32 v4, vcc, s6, v15
	v_addc_co_u32_e32 v5, vcc, v16, v2, vcc
	s_mov_b64 s[50:51], 0
	v_mov_b32_e32 v8, s80
	v_mov_b32_e32 v2, v0
	s_branch .LBB1_15
.LBB1_14:                               ;   in Loop: Header=BB1_15 Depth=2
	v_lshlrev_b64 v[6:7], 2, v[2:3]
	v_add_co_u32_e32 v6, vcc, s79, v6
	v_addc_co_u32_e32 v7, vcc, v8, v7, vcc
	global_load_dword v10, v[6:7], off
	v_add_u32_e32 v2, 0x100, v2
	v_add_co_u32_e32 v4, vcc, 0x400, v4
	v_cmp_lt_i32_e64 s[6:7], s36, v2
	s_or_b64 s[50:51], s[6:7], s[50:51]
	v_addc_co_u32_e32 v5, vcc, 0, v5, vcc
	s_waitcnt vmcnt(0)
	v_sub_f32_e32 v9, v10, v9
	global_store_dword v[6:7], v9, off
	s_andn2_b64 exec, exec, s[50:51]
	s_cbranch_execz .LBB1_19
.LBB1_15:                               ;   Parent Loop BB1_5 Depth=1
                                        ; =>  This Loop Header: Depth=2
                                        ;       Child Loop BB1_17 Depth 3
	v_mov_b32_e32 v9, 0
	s_andn2_b64 vcc, exec, s[48:49]
	s_cbranch_vccnz .LBB1_14
; %bb.16:                               ;   in Loop: Header=BB1_15 Depth=2
	v_pk_mov_b32 v[6:7], v[4:5], v[4:5] op_sel:[0,1]
	s_mov_b64 s[6:7], s[12:13]
	s_mov_b32 s80, s78
.LBB1_17:                               ;   Parent Loop BB1_5 Depth=1
                                        ;     Parent Loop BB1_15 Depth=2
                                        ; =>    This Inner Loop Header: Depth=3
	global_load_dword v10, v[6:7], off
	global_load_dword v11, v3, s[6:7]
	s_add_i32 s80, s80, -1
	s_add_u32 s6, s6, s38
	v_add_co_u32_e32 v6, vcc, s40, v6
	s_addc_u32 s7, s7, s39
	v_addc_co_u32_e32 v7, vcc, v7, v23, vcc
	s_cmp_eq_u32 s80, 0
	s_waitcnt vmcnt(0)
	v_fmac_f32_e32 v9, v10, v11
	s_cbranch_scc0 .LBB1_17
	s_branch .LBB1_14
.LBB1_18:                               ;   in Loop: Header=BB1_5 Depth=1
	s_cbranch_execz .LBB1_5
	s_branch .LBB1_212
.LBB1_19:                               ;   in Loop: Header=BB1_5 Depth=1
	s_or_b64 exec, exec, s[10:11]
	s_barrier
.LBB1_20:                               ;   in Loop: Header=BB1_5 Depth=1
	v_cmp_gt_i32_e64 s[6:7], s36, v0
	v_bfrev_b32_e32 v6, -2
	s_waitcnt vmcnt(0)
	v_mov_b32_e32 v2, 0
	s_and_saveexec_b64 s[12:13], s[6:7]
	s_cbranch_execz .LBB1_24
; %bb.21:                               ;   in Loop: Header=BB1_5 Depth=1
	s_lshl_b64 s[10:11], s[44:45], 2
	v_mov_b32_e32 v2, s11
	v_add_co_u32_e32 v4, vcc, s10, v18
	v_addc_co_u32_e32 v5, vcc, v19, v2, vcc
	s_mov_b64 s[48:49], 0
	v_bfrev_b32_e32 v6, -2
	v_mov_b32_e32 v2, 0
	v_mov_b32_e32 v7, v0
.LBB1_22:                               ;   Parent Loop BB1_5 Depth=1
                                        ; =>  This Inner Loop Header: Depth=2
	global_load_dword v8, v[4:5], off
	v_add_co_u32_e32 v4, vcc, 0x400, v4
	v_cmp_eq_u32_e64 s[10:11], s76, v6
	v_add_u32_e32 v9, 1, v7
	v_add_u32_e32 v7, 0x100, v7
	v_addc_co_u32_e32 v5, vcc, 0, v5, vcc
	v_cmp_le_i32_e32 vcc, s36, v7
	s_waitcnt vmcnt(0)
	v_cmp_lt_f32_e64 s[50:51], v2, |v8|
	s_or_b64 s[10:11], s[50:51], s[10:11]
	v_cndmask_b32_e64 v2, v2, |v8|, s[10:11]
	s_or_b64 s[48:49], vcc, s[48:49]
	v_cndmask_b32_e64 v6, v6, v9, s[10:11]
	s_andn2_b64 exec, exec, s[48:49]
	s_cbranch_execnz .LBB1_22
; %bb.23:                               ;   in Loop: Header=BB1_5 Depth=1
	s_or_b64 exec, exec, s[48:49]
.LBB1_24:                               ;   in Loop: Header=BB1_5 Depth=1
	s_or_b64 exec, exec, s[12:13]
	s_cmp_lt_i32 s36, 2
	ds_write_b32 v13, v2
	ds_write_b32 v12, v6
	s_waitcnt lgkmcnt(0)
	s_barrier
	s_cbranch_scc1 .LBB1_59
; %bb.25:                               ;   in Loop: Header=BB1_5 Depth=1
	s_and_saveexec_b64 s[12:13], s[2:3]
	s_cbranch_execz .LBB1_31
; %bb.26:                               ;   in Loop: Header=BB1_5 Depth=1
	ds_read_b32 v4, v13 offset:512
	ds_read_b32 v5, v12 offset:512
	s_waitcnt lgkmcnt(1)
	v_cmp_lt_f32_e64 s[48:49], v2, v4
	v_cmp_nlt_f32_e32 vcc, v2, v4
	s_and_saveexec_b64 s[50:51], vcc
	s_cbranch_execz .LBB1_28
; %bb.27:                               ;   in Loop: Header=BB1_5 Depth=1
	v_cmp_eq_f32_e32 vcc, v2, v4
	s_waitcnt lgkmcnt(0)
	v_cmp_gt_i32_e64 s[10:11], v6, v5
	s_and_b64 s[10:11], vcc, s[10:11]
	s_andn2_b64 s[48:49], s[48:49], exec
	s_and_b64 s[10:11], s[10:11], exec
	s_or_b64 s[48:49], s[48:49], s[10:11]
.LBB1_28:                               ;   in Loop: Header=BB1_5 Depth=1
	s_or_b64 exec, exec, s[50:51]
	s_and_saveexec_b64 s[10:11], s[48:49]
	s_cbranch_execz .LBB1_30
; %bb.29:                               ;   in Loop: Header=BB1_5 Depth=1
	s_waitcnt lgkmcnt(0)
	v_mov_b32_e32 v6, v5
	v_mov_b32_e32 v2, v4
	ds_write_b32 v13, v4
	ds_write_b32 v12, v5
.LBB1_30:                               ;   in Loop: Header=BB1_5 Depth=1
	s_or_b64 exec, exec, s[10:11]
.LBB1_31:                               ;   in Loop: Header=BB1_5 Depth=1
	s_or_b64 exec, exec, s[12:13]
	s_waitcnt lgkmcnt(0)
	s_barrier
	s_and_saveexec_b64 s[48:49], s[4:5]
	s_cbranch_execz .LBB1_58
; %bb.32:                               ;   in Loop: Header=BB1_5 Depth=1
	ds_read_b32 v4, v13 offset:256
	ds_read_b32 v5, v12 offset:256
	s_waitcnt lgkmcnt(1)
	v_cmp_lt_f32_e64 s[12:13], v2, v4
	v_cmp_nlt_f32_e32 vcc, v2, v4
	s_and_saveexec_b64 s[50:51], vcc
	s_cbranch_execz .LBB1_34
; %bb.33:                               ;   in Loop: Header=BB1_5 Depth=1
	v_cmp_eq_f32_e32 vcc, v2, v4
	s_waitcnt lgkmcnt(0)
	v_cmp_gt_i32_e64 s[10:11], v6, v5
	s_and_b64 s[10:11], vcc, s[10:11]
	s_andn2_b64 s[12:13], s[12:13], exec
	s_and_b64 s[10:11], s[10:11], exec
	s_or_b64 s[12:13], s[12:13], s[10:11]
.LBB1_34:                               ;   in Loop: Header=BB1_5 Depth=1
	s_or_b64 exec, exec, s[50:51]
	s_and_saveexec_b64 s[10:11], s[12:13]
	s_cbranch_execz .LBB1_36
; %bb.35:                               ;   in Loop: Header=BB1_5 Depth=1
	v_mov_b32_e32 v2, v4
	s_waitcnt lgkmcnt(0)
	v_mov_b32_e32 v6, v5
	ds_write_b32 v13, v4
	ds_write_b32 v12, v5
.LBB1_36:                               ;   in Loop: Header=BB1_5 Depth=1
	s_or_b64 exec, exec, s[10:11]
	ds_read_b32 v4, v13 offset:128
	s_waitcnt lgkmcnt(1)
	ds_read_b32 v5, v12 offset:128
	s_waitcnt lgkmcnt(1)
	v_cmp_lt_f32_e64 s[12:13], v2, v4
	v_cmp_nlt_f32_e32 vcc, v2, v4
	s_and_saveexec_b64 s[50:51], vcc
	s_cbranch_execz .LBB1_38
; %bb.37:                               ;   in Loop: Header=BB1_5 Depth=1
	v_cmp_eq_f32_e32 vcc, v2, v4
	s_waitcnt lgkmcnt(0)
	v_cmp_gt_i32_e64 s[10:11], v6, v5
	s_and_b64 s[10:11], vcc, s[10:11]
	s_andn2_b64 s[12:13], s[12:13], exec
	s_and_b64 s[10:11], s[10:11], exec
	s_or_b64 s[12:13], s[12:13], s[10:11]
.LBB1_38:                               ;   in Loop: Header=BB1_5 Depth=1
	s_or_b64 exec, exec, s[50:51]
	s_and_saveexec_b64 s[10:11], s[12:13]
	s_cbranch_execz .LBB1_40
; %bb.39:                               ;   in Loop: Header=BB1_5 Depth=1
	v_mov_b32_e32 v2, v4
	s_waitcnt lgkmcnt(0)
	v_mov_b32_e32 v6, v5
	ds_write_b32 v13, v4
	ds_write_b32 v12, v5
.LBB1_40:                               ;   in Loop: Header=BB1_5 Depth=1
	s_or_b64 exec, exec, s[10:11]
	ds_read_b32 v4, v13 offset:64
	s_waitcnt lgkmcnt(1)
	ds_read_b32 v5, v12 offset:64
	s_waitcnt lgkmcnt(1)
	v_cmp_lt_f32_e64 s[12:13], v2, v4
	v_cmp_nlt_f32_e32 vcc, v2, v4
	s_and_saveexec_b64 s[50:51], vcc
	s_cbranch_execz .LBB1_42
; %bb.41:                               ;   in Loop: Header=BB1_5 Depth=1
	v_cmp_eq_f32_e32 vcc, v2, v4
	s_waitcnt lgkmcnt(0)
	v_cmp_gt_i32_e64 s[10:11], v6, v5
	s_and_b64 s[10:11], vcc, s[10:11]
	s_andn2_b64 s[12:13], s[12:13], exec
	s_and_b64 s[10:11], s[10:11], exec
	s_or_b64 s[12:13], s[12:13], s[10:11]
.LBB1_42:                               ;   in Loop: Header=BB1_5 Depth=1
	s_or_b64 exec, exec, s[50:51]
	s_and_saveexec_b64 s[10:11], s[12:13]
	s_cbranch_execz .LBB1_44
; %bb.43:                               ;   in Loop: Header=BB1_5 Depth=1
	v_mov_b32_e32 v2, v4
	s_waitcnt lgkmcnt(0)
	v_mov_b32_e32 v6, v5
	ds_write_b32 v13, v4
	ds_write_b32 v12, v5
.LBB1_44:                               ;   in Loop: Header=BB1_5 Depth=1
	s_or_b64 exec, exec, s[10:11]
	ds_read_b32 v4, v13 offset:32
	s_waitcnt lgkmcnt(1)
	ds_read_b32 v5, v12 offset:32
	s_waitcnt lgkmcnt(1)
	v_cmp_lt_f32_e64 s[12:13], v2, v4
	v_cmp_nlt_f32_e32 vcc, v2, v4
	s_and_saveexec_b64 s[50:51], vcc
	s_cbranch_execz .LBB1_46
; %bb.45:                               ;   in Loop: Header=BB1_5 Depth=1
	v_cmp_eq_f32_e32 vcc, v2, v4
	s_waitcnt lgkmcnt(0)
	v_cmp_gt_i32_e64 s[10:11], v6, v5
	s_and_b64 s[10:11], vcc, s[10:11]
	s_andn2_b64 s[12:13], s[12:13], exec
	s_and_b64 s[10:11], s[10:11], exec
	s_or_b64 s[12:13], s[12:13], s[10:11]
.LBB1_46:                               ;   in Loop: Header=BB1_5 Depth=1
	s_or_b64 exec, exec, s[50:51]
	s_and_saveexec_b64 s[10:11], s[12:13]
	s_cbranch_execz .LBB1_48
; %bb.47:                               ;   in Loop: Header=BB1_5 Depth=1
	v_mov_b32_e32 v2, v4
	s_waitcnt lgkmcnt(0)
	v_mov_b32_e32 v6, v5
	ds_write_b32 v13, v4
	ds_write_b32 v12, v5
.LBB1_48:                               ;   in Loop: Header=BB1_5 Depth=1
	s_or_b64 exec, exec, s[10:11]
	ds_read_b32 v4, v13 offset:16
	s_waitcnt lgkmcnt(1)
	ds_read_b32 v5, v12 offset:16
	s_waitcnt lgkmcnt(1)
	v_cmp_lt_f32_e64 s[12:13], v2, v4
	v_cmp_nlt_f32_e32 vcc, v2, v4
	s_and_saveexec_b64 s[50:51], vcc
	s_cbranch_execz .LBB1_50
; %bb.49:                               ;   in Loop: Header=BB1_5 Depth=1
	v_cmp_eq_f32_e32 vcc, v2, v4
	s_waitcnt lgkmcnt(0)
	v_cmp_gt_i32_e64 s[10:11], v6, v5
	s_and_b64 s[10:11], vcc, s[10:11]
	s_andn2_b64 s[12:13], s[12:13], exec
	s_and_b64 s[10:11], s[10:11], exec
	s_or_b64 s[12:13], s[12:13], s[10:11]
.LBB1_50:                               ;   in Loop: Header=BB1_5 Depth=1
	s_or_b64 exec, exec, s[50:51]
	s_and_saveexec_b64 s[10:11], s[12:13]
	s_cbranch_execz .LBB1_52
; %bb.51:                               ;   in Loop: Header=BB1_5 Depth=1
	v_mov_b32_e32 v2, v4
	s_waitcnt lgkmcnt(0)
	v_mov_b32_e32 v6, v5
	ds_write_b32 v13, v4
	ds_write_b32 v12, v5
.LBB1_52:                               ;   in Loop: Header=BB1_5 Depth=1
	s_or_b64 exec, exec, s[10:11]
	ds_read_b32 v4, v13 offset:8
	s_waitcnt lgkmcnt(1)
	ds_read_b32 v5, v12 offset:8
	s_waitcnt lgkmcnt(1)
	v_cmp_lt_f32_e64 s[12:13], v2, v4
	v_cmp_nlt_f32_e32 vcc, v2, v4
	s_and_saveexec_b64 s[50:51], vcc
	s_cbranch_execz .LBB1_54
; %bb.53:                               ;   in Loop: Header=BB1_5 Depth=1
	v_cmp_eq_f32_e32 vcc, v2, v4
	s_waitcnt lgkmcnt(0)
	v_cmp_gt_i32_e64 s[10:11], v6, v5
	s_and_b64 s[10:11], vcc, s[10:11]
	s_andn2_b64 s[12:13], s[12:13], exec
	s_and_b64 s[10:11], s[10:11], exec
	s_or_b64 s[12:13], s[12:13], s[10:11]
.LBB1_54:                               ;   in Loop: Header=BB1_5 Depth=1
	s_or_b64 exec, exec, s[50:51]
	s_and_saveexec_b64 s[10:11], s[12:13]
	s_cbranch_execz .LBB1_56
; %bb.55:                               ;   in Loop: Header=BB1_5 Depth=1
	v_mov_b32_e32 v2, v4
	s_waitcnt lgkmcnt(0)
	v_mov_b32_e32 v6, v5
	ds_write_b32 v13, v4
	ds_write_b32 v12, v5
.LBB1_56:                               ;   in Loop: Header=BB1_5 Depth=1
	s_or_b64 exec, exec, s[10:11]
	ds_read_b32 v4, v13 offset:4
	s_waitcnt lgkmcnt(1)
	ds_read_b32 v5, v12 offset:4
	s_waitcnt lgkmcnt(1)
	v_cmp_eq_f32_e64 s[10:11], v2, v4
	s_waitcnt lgkmcnt(0)
	v_cmp_gt_i32_e64 s[12:13], v6, v5
	v_cmp_lt_f32_e32 vcc, v2, v4
	s_and_b64 s[10:11], s[10:11], s[12:13]
	s_or_b64 s[10:11], vcc, s[10:11]
	s_and_b64 exec, exec, s[10:11]
	s_cbranch_execz .LBB1_58
; %bb.57:                               ;   in Loop: Header=BB1_5 Depth=1
	ds_write_b32 v13, v4
	ds_write_b32 v12, v5
.LBB1_58:                               ;   in Loop: Header=BB1_5 Depth=1
	s_or_b64 exec, exec, s[48:49]
.LBB1_59:                               ;   in Loop: Header=BB1_5 Depth=1
	s_and_saveexec_b64 s[10:11], s[0:1]
	s_cbranch_execz .LBB1_61
; %bb.60:                               ;   in Loop: Header=BB1_5 Depth=1
	s_add_i32 s12, s44, s36
	s_ashr_i32 s13, s12, 31
	s_lshl_b64 s[12:13], s[12:13], 2
	s_add_u32 s12, s55, s12
	s_addc_u32 s13, s56, s13
	global_load_dword v2, v3, s[12:13]
	ds_read2st64_b32 v[4:5], v3 offset1:4
	s_waitcnt lgkmcnt(0)
	v_add_u32_e32 v4, -1, v4
	ds_write_b32 v3, v4 offset:2048
	s_waitcnt vmcnt(0)
	v_and_b32_e32 v4, 0x7fffffff, v2
	ds_write_b64 v3, v[4:5] offset:2056
.LBB1_61:                               ;   in Loop: Header=BB1_5 Depth=1
	s_or_b64 exec, exec, s[10:11]
	s_waitcnt lgkmcnt(0)
	s_barrier
	ds_read_b64 v[4:5], v3 offset:2056
	s_waitcnt lgkmcnt(0)
	v_cmp_lt_f32_e32 vcc, v4, v5
	v_cndmask_b32_e32 v2, v4, v5, vcc
	v_cmp_neq_f32_e32 vcc, 0, v2
	s_cbranch_vccz .LBB1_78
; %bb.62:                               ;   in Loop: Header=BB1_5 Depth=1
	v_mul_f32_e32 v2, 0x3f23f07b, v5
	v_cmp_ge_f32_e32 vcc, v4, v2
	s_cbranch_vccnz .LBB1_170
; %bb.63:                               ;   in Loop: Header=BB1_5 Depth=1
	ds_read_b32 v2, v3 offset:2048
	s_waitcnt lgkmcnt(0)
	v_readfirstlane_b32 s45, v2
	v_cmp_ge_i32_e32 vcc, v2, v0
	s_and_saveexec_b64 s[10:11], vcc
	s_cbranch_execz .LBB1_66
; %bb.64:                               ;   in Loop: Header=BB1_5 Depth=1
	s_add_i32 s13, s77, -1
	s_mul_i32 s13, s13, s22
	v_add_u32_e32 v4, s13, v0
	s_mul_i32 s12, s45, s21
	v_ashrrev_i32_e32 v5, 31, v4
	v_lshlrev_b64 v[4:5], 2, v[4:5]
	v_add_u32_e32 v6, s12, v0
	v_mov_b32_e32 v2, s71
	v_add_co_u32_e32 v4, vcc, s70, v4
	v_ashrrev_i32_e32 v7, 31, v6
	v_addc_co_u32_e32 v5, vcc, v2, v5, vcc
	v_lshlrev_b64 v[6:7], 2, v[6:7]
	v_mov_b32_e32 v2, s73
	v_add_co_u32_e32 v6, vcc, s72, v6
	v_addc_co_u32_e32 v7, vcc, v2, v7, vcc
	s_mov_b64 s[12:13], 0
	v_mov_b32_e32 v2, v0
.LBB1_65:                               ;   Parent Loop BB1_5 Depth=1
                                        ; =>  This Inner Loop Header: Depth=2
	global_load_dword v8, v[6:7], off
	v_add_u32_e32 v2, 0x100, v2
	v_cmp_lt_i32_e32 vcc, s45, v2
	s_or_b64 s[12:13], vcc, s[12:13]
	s_waitcnt vmcnt(0)
	global_store_dword v[4:5], v8, off
	v_add_co_u32_e32 v4, vcc, 0x400, v4
	v_addc_co_u32_e32 v5, vcc, 0, v5, vcc
	v_add_co_u32_e32 v6, vcc, 0x400, v6
	v_addc_co_u32_e32 v7, vcc, 0, v7, vcc
	s_andn2_b64 exec, exec, s[12:13]
	s_cbranch_execnz .LBB1_65
.LBB1_66:                               ;   in Loop: Header=BB1_5 Depth=1
	s_or_b64 exec, exec, s[10:11]
	s_sub_i32 s48, s36, s45
	v_cmp_gt_i32_e32 vcc, s48, v0
	s_and_saveexec_b64 s[10:11], vcc
	s_cbranch_execz .LBB1_69
; %bb.67:                               ;   in Loop: Header=BB1_5 Depth=1
	s_add_i32 s12, s77, -1
	s_mul_i32 s12, s12, s22
	v_add_u32_e32 v2, s45, v1
	s_add_i32 s49, s45, s12
	v_mul_lo_u32 v2, s21, v2
	s_add_i32 s49, s49, 1
	v_add_u32_e32 v4, s45, v2
	s_mov_b64 s[12:13], 0
	v_mov_b32_e32 v2, v0
.LBB1_68:                               ;   Parent Loop BB1_5 Depth=1
                                        ; =>  This Inner Loop Header: Depth=2
	v_ashrrev_i32_e32 v5, 31, v4
	v_lshlrev_b64 v[6:7], 2, v[4:5]
	v_mov_b32_e32 v8, s33
	v_add_co_u32_e32 v6, vcc, s20, v6
	v_addc_co_u32_e32 v7, vcc, v8, v7, vcc
	global_load_dword v5, v[6:7], off
	v_add_u32_e32 v6, s49, v2
	v_add_u32_e32 v2, 0x100, v2
	v_ashrrev_i32_e32 v7, 31, v6
	v_cmp_le_i32_e32 vcc, s48, v2
	v_lshlrev_b64 v[6:7], 2, v[6:7]
	v_mov_b32_e32 v8, s56
	s_or_b64 s[12:13], vcc, s[12:13]
	v_add_co_u32_e32 v6, vcc, s55, v6
	v_add_u32_e32 v4, s74, v4
	v_addc_co_u32_e32 v7, vcc, v8, v7, vcc
	s_waitcnt vmcnt(0)
	global_store_dword v[6:7], v5, off
	s_andn2_b64 exec, exec, s[12:13]
	s_cbranch_execnz .LBB1_68
.LBB1_69:                               ;   in Loop: Header=BB1_5 Depth=1
	s_or_b64 exec, exec, s[10:11]
	s_andn2_b64 vcc, exec, s[46:47]
	s_mov_b64 s[10:11], -1
	s_barrier
	s_waitcnt lgkmcnt(0)
                                        ; implicit-def: $sgpr46
	s_cbranch_vccnz .LBB1_71
; %bb.70:                               ;   in Loop: Header=BB1_5 Depth=1
	s_add_i32 s10, s77, -1
	s_mul_i32 s46, s10, s22
	s_ashr_i32 s47, s46, 31
	s_mov_b64 s[10:11], 0
.LBB1_71:                               ;   in Loop: Header=BB1_5 Depth=1
	s_andn2_b64 vcc, exec, s[10:11]
	s_cbranch_vccnz .LBB1_80
; %bb.72:                               ;   in Loop: Header=BB1_5 Depth=1
	s_add_i32 s10, s77, 1
	s_mul_i32 s10, s10, s22
	s_sub_i32 s46, s10, s61
	s_ashr_i32 s47, s46, 31
	s_and_saveexec_b64 s[12:13], s[8:9]
	s_cbranch_execz .LBB1_79
; %bb.73:                               ;   in Loop: Header=BB1_5 Depth=1
	ds_read_b32 v4, v3 offset:2048
	s_add_i32 s11, s36, 1
	s_mul_i32 s50, s11, s21
	v_mov_b32_e32 v2, s56
	s_ashr_i32 s11, s10, 31
	s_waitcnt lgkmcnt(0)
	v_ashrrev_i32_e32 v5, 31, v4
	v_lshlrev_b64 v[4:5], 2, v[4:5]
	v_add_co_u32_e32 v4, vcc, s55, v4
	s_not_b32 s45, s36
	v_addc_co_u32_e32 v2, vcc, v2, v5, vcc
	s_lshl_b64 s[10:11], s[10:11], 2
	s_add_i32 s45, s45, s22
	s_ashr_i32 s51, s50, 31
	v_mov_b32_e32 v5, s11
	v_add_co_u32_e32 v4, vcc, s10, v4
	s_lshl_b64 s[10:11], s[46:47], 2
	s_add_u32 s78, s55, s10
	s_addc_u32 s79, s56, s11
	s_cmp_gt_i32 s45, 0
	v_addc_co_u32_e32 v5, vcc, v2, v5, vcc
	s_cselect_b64 s[48:49], -1, 0
	s_lshl_b64 s[10:11], s[50:51], 2
	v_mov_b32_e32 v2, s11
	v_add_co_u32_e32 v6, vcc, s10, v15
	v_addc_co_u32_e32 v7, vcc, v16, v2, vcc
	s_mov_b64 s[50:51], 0
	v_mov_b32_e32 v2, v0
	s_branch .LBB1_75
.LBB1_74:                               ;   in Loop: Header=BB1_75 Depth=2
	v_lshlrev_b64 v[8:9], 2, v[2:3]
	v_mov_b32_e32 v10, s79
	v_add_co_u32_e32 v8, vcc, s78, v8
	v_addc_co_u32_e32 v9, vcc, v10, v9, vcc
	global_load_dword v10, v[8:9], off
	v_add_u32_e32 v2, 0x100, v2
	v_add_co_u32_e32 v6, vcc, 0x400, v6
	v_cmp_lt_i32_e64 s[10:11], s36, v2
	s_or_b64 s[50:51], s[10:11], s[50:51]
	v_addc_co_u32_e32 v7, vcc, 0, v7, vcc
	s_waitcnt vmcnt(0)
	v_sub_f32_e32 v10, v10, v24
	global_store_dword v[8:9], v10, off
	s_andn2_b64 exec, exec, s[50:51]
	s_cbranch_execz .LBB1_79
.LBB1_75:                               ;   Parent Loop BB1_5 Depth=1
                                        ; =>  This Loop Header: Depth=2
                                        ;       Child Loop BB1_77 Depth 3
	v_mov_b32_e32 v24, 0
	s_andn2_b64 vcc, exec, s[48:49]
	s_cbranch_vccnz .LBB1_74
; %bb.76:                               ;   in Loop: Header=BB1_75 Depth=2
	v_pk_mov_b32 v[8:9], v[6:7], v[6:7] op_sel:[0,1]
	v_pk_mov_b32 v[10:11], v[4:5], v[4:5] op_sel:[0,1]
	s_mov_b32 s80, s45
.LBB1_77:                               ;   Parent Loop BB1_5 Depth=1
                                        ;     Parent Loop BB1_75 Depth=2
                                        ; =>    This Inner Loop Header: Depth=3
	global_load_dword v25, v[8:9], off
	global_load_dword v26, v[10:11], off
	s_add_i32 s80, s80, -1
	v_mov_b32_e32 v27, s39
	v_mov_b32_e32 v28, s41
	v_add_co_u32_e32 v8, vcc, s40, v8
	v_add_co_u32_e64 v10, s[10:11], s38, v10
	v_addc_co_u32_e64 v11, s[10:11], v11, v27, s[10:11]
	v_addc_co_u32_e32 v9, vcc, v9, v28, vcc
	s_cmp_eq_u32 s80, 0
	s_waitcnt vmcnt(0)
	v_fmac_f32_e32 v24, v25, v26
	s_cbranch_scc0 .LBB1_77
	s_branch .LBB1_74
.LBB1_78:                               ;   in Loop: Header=BB1_5 Depth=1
                                        ; implicit-def: $sgpr45
                                        ; implicit-def: $sgpr12
                                        ; implicit-def: $sgpr8_sgpr9
	s_cbranch_execz .LBB1_189
	s_branch .LBB1_204
.LBB1_79:                               ;   in Loop: Header=BB1_5 Depth=1
	s_or_b64 exec, exec, s[12:13]
	s_barrier
.LBB1_80:                               ;   in Loop: Header=BB1_5 Depth=1
	ds_read_b32 v4, v3 offset:2048
	v_bfrev_b32_e32 v6, -2
	v_mov_b32_e32 v2, 0
	s_waitcnt lgkmcnt(0)
	v_sub_u32_e32 v7, s36, v4
	v_cmp_gt_i32_e32 vcc, v7, v0
	s_and_saveexec_b64 s[12:13], vcc
	s_cbranch_execz .LBB1_84
; %bb.81:                               ;   in Loop: Header=BB1_5 Depth=1
	v_ashrrev_i32_e32 v5, 31, v4
	s_lshl_b64 s[10:11], s[46:47], 2
	v_lshlrev_b64 v[4:5], 2, v[4:5]
	v_mov_b32_e32 v2, s11
	v_add_co_u32_e32 v4, vcc, s10, v4
	v_addc_co_u32_e32 v2, vcc, v2, v5, vcc
	v_add_co_u32_e32 v4, vcc, v20, v4
	v_addc_co_u32_e32 v5, vcc, v21, v2, vcc
	s_mov_b64 s[48:49], 0
	v_bfrev_b32_e32 v6, -2
	v_mov_b32_e32 v2, 0
	v_mov_b32_e32 v8, v0
.LBB1_82:                               ;   Parent Loop BB1_5 Depth=1
                                        ; =>  This Inner Loop Header: Depth=2
	global_load_dword v9, v[4:5], off
	v_add_co_u32_e32 v4, vcc, 0x400, v4
	v_cmp_eq_u32_e64 s[10:11], s76, v6
	v_add_u32_e32 v10, 1, v8
	v_add_u32_e32 v8, 0x100, v8
	v_addc_co_u32_e32 v5, vcc, 0, v5, vcc
	v_cmp_ge_i32_e32 vcc, v8, v7
	s_waitcnt vmcnt(0)
	v_cmp_lt_f32_e64 s[50:51], v2, |v9|
	s_or_b64 s[10:11], s[50:51], s[10:11]
	v_cndmask_b32_e64 v2, v2, |v9|, s[10:11]
	s_or_b64 s[48:49], vcc, s[48:49]
	v_cndmask_b32_e64 v6, v6, v10, s[10:11]
	s_andn2_b64 exec, exec, s[48:49]
	s_cbranch_execnz .LBB1_82
; %bb.83:                               ;   in Loop: Header=BB1_5 Depth=1
	s_or_b64 exec, exec, s[48:49]
.LBB1_84:                               ;   in Loop: Header=BB1_5 Depth=1
	s_or_b64 exec, exec, s[12:13]
	v_cmp_gt_i32_e32 vcc, 2, v7
	s_and_b64 vcc, exec, vcc
	ds_write_b32 v13, v2
	ds_write_b32 v12, v6
	s_waitcnt lgkmcnt(0)
	s_barrier
	s_cbranch_vccnz .LBB1_119
; %bb.85:                               ;   in Loop: Header=BB1_5 Depth=1
	s_and_saveexec_b64 s[12:13], s[2:3]
	s_cbranch_execz .LBB1_91
; %bb.86:                               ;   in Loop: Header=BB1_5 Depth=1
	ds_read_b32 v4, v13 offset:512
	ds_read_b32 v5, v12 offset:512
	s_waitcnt lgkmcnt(1)
	v_cmp_lt_f32_e64 s[48:49], v2, v4
	v_cmp_nlt_f32_e32 vcc, v2, v4
	s_and_saveexec_b64 s[50:51], vcc
	s_cbranch_execz .LBB1_88
; %bb.87:                               ;   in Loop: Header=BB1_5 Depth=1
	v_cmp_eq_f32_e32 vcc, v2, v4
	s_waitcnt lgkmcnt(0)
	v_cmp_gt_i32_e64 s[10:11], v6, v5
	s_and_b64 s[10:11], vcc, s[10:11]
	s_andn2_b64 s[48:49], s[48:49], exec
	s_and_b64 s[10:11], s[10:11], exec
	s_or_b64 s[48:49], s[48:49], s[10:11]
.LBB1_88:                               ;   in Loop: Header=BB1_5 Depth=1
	s_or_b64 exec, exec, s[50:51]
	s_and_saveexec_b64 s[10:11], s[48:49]
	s_cbranch_execz .LBB1_90
; %bb.89:                               ;   in Loop: Header=BB1_5 Depth=1
	s_waitcnt lgkmcnt(0)
	v_mov_b32_e32 v6, v5
	v_mov_b32_e32 v2, v4
	ds_write_b32 v13, v4
	ds_write_b32 v12, v5
.LBB1_90:                               ;   in Loop: Header=BB1_5 Depth=1
	s_or_b64 exec, exec, s[10:11]
.LBB1_91:                               ;   in Loop: Header=BB1_5 Depth=1
	s_or_b64 exec, exec, s[12:13]
	s_waitcnt lgkmcnt(0)
	s_barrier
	s_and_saveexec_b64 s[48:49], s[4:5]
	s_cbranch_execz .LBB1_118
; %bb.92:                               ;   in Loop: Header=BB1_5 Depth=1
	ds_read_b32 v4, v13 offset:256
	ds_read_b32 v5, v12 offset:256
	s_waitcnt lgkmcnt(1)
	v_cmp_lt_f32_e64 s[12:13], v2, v4
	v_cmp_nlt_f32_e32 vcc, v2, v4
	s_and_saveexec_b64 s[50:51], vcc
	s_cbranch_execz .LBB1_94
; %bb.93:                               ;   in Loop: Header=BB1_5 Depth=1
	v_cmp_eq_f32_e32 vcc, v2, v4
	s_waitcnt lgkmcnt(0)
	v_cmp_gt_i32_e64 s[10:11], v6, v5
	s_and_b64 s[10:11], vcc, s[10:11]
	s_andn2_b64 s[12:13], s[12:13], exec
	s_and_b64 s[10:11], s[10:11], exec
	s_or_b64 s[12:13], s[12:13], s[10:11]
.LBB1_94:                               ;   in Loop: Header=BB1_5 Depth=1
	s_or_b64 exec, exec, s[50:51]
	s_and_saveexec_b64 s[10:11], s[12:13]
	s_cbranch_execz .LBB1_96
; %bb.95:                               ;   in Loop: Header=BB1_5 Depth=1
	v_mov_b32_e32 v2, v4
	s_waitcnt lgkmcnt(0)
	v_mov_b32_e32 v6, v5
	ds_write_b32 v13, v4
	ds_write_b32 v12, v5
.LBB1_96:                               ;   in Loop: Header=BB1_5 Depth=1
	s_or_b64 exec, exec, s[10:11]
	ds_read_b32 v4, v13 offset:128
	s_waitcnt lgkmcnt(1)
	ds_read_b32 v5, v12 offset:128
	s_waitcnt lgkmcnt(1)
	v_cmp_lt_f32_e64 s[12:13], v2, v4
	v_cmp_nlt_f32_e32 vcc, v2, v4
	s_and_saveexec_b64 s[50:51], vcc
	s_cbranch_execz .LBB1_98
; %bb.97:                               ;   in Loop: Header=BB1_5 Depth=1
	v_cmp_eq_f32_e32 vcc, v2, v4
	s_waitcnt lgkmcnt(0)
	v_cmp_gt_i32_e64 s[10:11], v6, v5
	s_and_b64 s[10:11], vcc, s[10:11]
	s_andn2_b64 s[12:13], s[12:13], exec
	s_and_b64 s[10:11], s[10:11], exec
	s_or_b64 s[12:13], s[12:13], s[10:11]
.LBB1_98:                               ;   in Loop: Header=BB1_5 Depth=1
	s_or_b64 exec, exec, s[50:51]
	s_and_saveexec_b64 s[10:11], s[12:13]
	s_cbranch_execz .LBB1_100
; %bb.99:                               ;   in Loop: Header=BB1_5 Depth=1
	v_mov_b32_e32 v2, v4
	s_waitcnt lgkmcnt(0)
	v_mov_b32_e32 v6, v5
	ds_write_b32 v13, v4
	ds_write_b32 v12, v5
.LBB1_100:                              ;   in Loop: Header=BB1_5 Depth=1
	s_or_b64 exec, exec, s[10:11]
	ds_read_b32 v4, v13 offset:64
	s_waitcnt lgkmcnt(1)
	ds_read_b32 v5, v12 offset:64
	s_waitcnt lgkmcnt(1)
	v_cmp_lt_f32_e64 s[12:13], v2, v4
	v_cmp_nlt_f32_e32 vcc, v2, v4
	s_and_saveexec_b64 s[50:51], vcc
	s_cbranch_execz .LBB1_102
; %bb.101:                              ;   in Loop: Header=BB1_5 Depth=1
	v_cmp_eq_f32_e32 vcc, v2, v4
	s_waitcnt lgkmcnt(0)
	v_cmp_gt_i32_e64 s[10:11], v6, v5
	s_and_b64 s[10:11], vcc, s[10:11]
	s_andn2_b64 s[12:13], s[12:13], exec
	s_and_b64 s[10:11], s[10:11], exec
	s_or_b64 s[12:13], s[12:13], s[10:11]
.LBB1_102:                              ;   in Loop: Header=BB1_5 Depth=1
	s_or_b64 exec, exec, s[50:51]
	s_and_saveexec_b64 s[10:11], s[12:13]
	s_cbranch_execz .LBB1_104
; %bb.103:                              ;   in Loop: Header=BB1_5 Depth=1
	v_mov_b32_e32 v2, v4
	s_waitcnt lgkmcnt(0)
	v_mov_b32_e32 v6, v5
	ds_write_b32 v13, v4
	ds_write_b32 v12, v5
.LBB1_104:                              ;   in Loop: Header=BB1_5 Depth=1
	s_or_b64 exec, exec, s[10:11]
	ds_read_b32 v4, v13 offset:32
	s_waitcnt lgkmcnt(1)
	ds_read_b32 v5, v12 offset:32
	s_waitcnt lgkmcnt(1)
	v_cmp_lt_f32_e64 s[12:13], v2, v4
	v_cmp_nlt_f32_e32 vcc, v2, v4
	s_and_saveexec_b64 s[50:51], vcc
	s_cbranch_execz .LBB1_106
; %bb.105:                              ;   in Loop: Header=BB1_5 Depth=1
	v_cmp_eq_f32_e32 vcc, v2, v4
	s_waitcnt lgkmcnt(0)
	v_cmp_gt_i32_e64 s[10:11], v6, v5
	s_and_b64 s[10:11], vcc, s[10:11]
	s_andn2_b64 s[12:13], s[12:13], exec
	s_and_b64 s[10:11], s[10:11], exec
	s_or_b64 s[12:13], s[12:13], s[10:11]
.LBB1_106:                              ;   in Loop: Header=BB1_5 Depth=1
	s_or_b64 exec, exec, s[50:51]
	s_and_saveexec_b64 s[10:11], s[12:13]
	s_cbranch_execz .LBB1_108
; %bb.107:                              ;   in Loop: Header=BB1_5 Depth=1
	v_mov_b32_e32 v2, v4
	s_waitcnt lgkmcnt(0)
	v_mov_b32_e32 v6, v5
	ds_write_b32 v13, v4
	ds_write_b32 v12, v5
.LBB1_108:                              ;   in Loop: Header=BB1_5 Depth=1
	;; [unrolled: 28-line block ×4, first 2 shown]
	s_or_b64 exec, exec, s[10:11]
	ds_read_b32 v4, v13 offset:4
	s_waitcnt lgkmcnt(1)
	ds_read_b32 v5, v12 offset:4
	s_waitcnt lgkmcnt(1)
	v_cmp_eq_f32_e64 s[10:11], v2, v4
	s_waitcnt lgkmcnt(0)
	v_cmp_gt_i32_e64 s[12:13], v6, v5
	v_cmp_lt_f32_e32 vcc, v2, v4
	s_and_b64 s[10:11], s[10:11], s[12:13]
	s_or_b64 s[10:11], vcc, s[10:11]
	s_and_b64 exec, exec, s[10:11]
	s_cbranch_execz .LBB1_118
; %bb.117:                              ;   in Loop: Header=BB1_5 Depth=1
	ds_write_b32 v13, v4
	ds_write_b32 v12, v5
.LBB1_118:                              ;   in Loop: Header=BB1_5 Depth=1
	s_or_b64 exec, exec, s[48:49]
.LBB1_119:                              ;   in Loop: Header=BB1_5 Depth=1
	s_and_saveexec_b64 s[10:11], s[0:1]
	s_cbranch_execz .LBB1_121
; %bb.120:                              ;   in Loop: Header=BB1_5 Depth=1
	ds_read_b32 v2, v3 offset:1024
	s_waitcnt lgkmcnt(0)
	ds_write_b32 v3, v2 offset:2064
.LBB1_121:                              ;   in Loop: Header=BB1_5 Depth=1
	s_or_b64 exec, exec, s[10:11]
	ds_read_b32 v7, v3 offset:2048
	s_waitcnt lgkmcnt(0)
	v_cmp_gt_i32_e32 vcc, 1, v7
	s_cbranch_vccnz .LBB1_164
; %bb.122:                              ;   in Loop: Header=BB1_5 Depth=1
	v_cmp_gt_i32_e32 vcc, v7, v0
	v_bfrev_b32_e32 v6, -2
	v_mov_b32_e32 v2, 0
	s_and_saveexec_b64 s[12:13], vcc
	s_cbranch_execz .LBB1_126
; %bb.123:                              ;   in Loop: Header=BB1_5 Depth=1
	s_lshl_b64 s[10:11], s[46:47], 2
	v_mov_b32_e32 v2, s11
	v_add_co_u32_e32 v4, vcc, s10, v18
	v_addc_co_u32_e32 v5, vcc, v19, v2, vcc
	s_mov_b64 s[48:49], 0
	v_bfrev_b32_e32 v6, -2
	v_mov_b32_e32 v2, 0
	v_mov_b32_e32 v8, v0
.LBB1_124:                              ;   Parent Loop BB1_5 Depth=1
                                        ; =>  This Inner Loop Header: Depth=2
	global_load_dword v9, v[4:5], off
	v_add_co_u32_e32 v4, vcc, 0x400, v4
	v_cmp_eq_u32_e64 s[10:11], s76, v6
	v_add_u32_e32 v10, 1, v8
	v_add_u32_e32 v8, 0x100, v8
	v_addc_co_u32_e32 v5, vcc, 0, v5, vcc
	v_cmp_ge_i32_e32 vcc, v8, v7
	s_waitcnt vmcnt(0)
	v_cmp_lt_f32_e64 s[50:51], v2, |v9|
	s_or_b64 s[10:11], s[50:51], s[10:11]
	v_cndmask_b32_e64 v2, v2, |v9|, s[10:11]
	s_or_b64 s[48:49], vcc, s[48:49]
	v_cndmask_b32_e64 v6, v6, v10, s[10:11]
	s_andn2_b64 exec, exec, s[48:49]
	s_cbranch_execnz .LBB1_124
; %bb.125:                              ;   in Loop: Header=BB1_5 Depth=1
	s_or_b64 exec, exec, s[48:49]
.LBB1_126:                              ;   in Loop: Header=BB1_5 Depth=1
	s_or_b64 exec, exec, s[12:13]
	v_cmp_eq_u32_e32 vcc, 1, v7
	s_and_b64 vcc, exec, vcc
	ds_write_b32 v13, v2
	ds_write_b32 v12, v6
	s_waitcnt lgkmcnt(0)
	s_barrier
	s_cbranch_vccnz .LBB1_161
; %bb.127:                              ;   in Loop: Header=BB1_5 Depth=1
	s_and_saveexec_b64 s[12:13], s[2:3]
	s_cbranch_execz .LBB1_133
; %bb.128:                              ;   in Loop: Header=BB1_5 Depth=1
	ds_read_b32 v4, v13 offset:512
	ds_read_b32 v5, v12 offset:512
	s_waitcnt lgkmcnt(1)
	v_cmp_lt_f32_e64 s[48:49], v2, v4
	v_cmp_nlt_f32_e32 vcc, v2, v4
	s_and_saveexec_b64 s[50:51], vcc
	s_cbranch_execz .LBB1_130
; %bb.129:                              ;   in Loop: Header=BB1_5 Depth=1
	v_cmp_eq_f32_e32 vcc, v2, v4
	s_waitcnt lgkmcnt(0)
	v_cmp_gt_i32_e64 s[10:11], v6, v5
	s_and_b64 s[10:11], vcc, s[10:11]
	s_andn2_b64 s[48:49], s[48:49], exec
	s_and_b64 s[10:11], s[10:11], exec
	s_or_b64 s[48:49], s[48:49], s[10:11]
.LBB1_130:                              ;   in Loop: Header=BB1_5 Depth=1
	s_or_b64 exec, exec, s[50:51]
	s_and_saveexec_b64 s[10:11], s[48:49]
	s_cbranch_execz .LBB1_132
; %bb.131:                              ;   in Loop: Header=BB1_5 Depth=1
	s_waitcnt lgkmcnt(0)
	v_mov_b32_e32 v6, v5
	v_mov_b32_e32 v2, v4
	ds_write_b32 v13, v4
	ds_write_b32 v12, v5
.LBB1_132:                              ;   in Loop: Header=BB1_5 Depth=1
	s_or_b64 exec, exec, s[10:11]
.LBB1_133:                              ;   in Loop: Header=BB1_5 Depth=1
	s_or_b64 exec, exec, s[12:13]
	s_waitcnt lgkmcnt(0)
	s_barrier
	s_and_saveexec_b64 s[48:49], s[4:5]
	s_cbranch_execz .LBB1_160
; %bb.134:                              ;   in Loop: Header=BB1_5 Depth=1
	ds_read_b32 v4, v13 offset:256
	ds_read_b32 v5, v12 offset:256
	s_waitcnt lgkmcnt(1)
	v_cmp_lt_f32_e64 s[12:13], v2, v4
	v_cmp_nlt_f32_e32 vcc, v2, v4
	s_and_saveexec_b64 s[50:51], vcc
	s_cbranch_execz .LBB1_136
; %bb.135:                              ;   in Loop: Header=BB1_5 Depth=1
	v_cmp_eq_f32_e32 vcc, v2, v4
	s_waitcnt lgkmcnt(0)
	v_cmp_gt_i32_e64 s[10:11], v6, v5
	s_and_b64 s[10:11], vcc, s[10:11]
	s_andn2_b64 s[12:13], s[12:13], exec
	s_and_b64 s[10:11], s[10:11], exec
	s_or_b64 s[12:13], s[12:13], s[10:11]
.LBB1_136:                              ;   in Loop: Header=BB1_5 Depth=1
	s_or_b64 exec, exec, s[50:51]
	s_and_saveexec_b64 s[10:11], s[12:13]
	s_cbranch_execz .LBB1_138
; %bb.137:                              ;   in Loop: Header=BB1_5 Depth=1
	v_mov_b32_e32 v2, v4
	s_waitcnt lgkmcnt(0)
	v_mov_b32_e32 v6, v5
	ds_write_b32 v13, v4
	ds_write_b32 v12, v5
.LBB1_138:                              ;   in Loop: Header=BB1_5 Depth=1
	s_or_b64 exec, exec, s[10:11]
	ds_read_b32 v4, v13 offset:128
	s_waitcnt lgkmcnt(1)
	ds_read_b32 v5, v12 offset:128
	s_waitcnt lgkmcnt(1)
	v_cmp_lt_f32_e64 s[12:13], v2, v4
	v_cmp_nlt_f32_e32 vcc, v2, v4
	s_and_saveexec_b64 s[50:51], vcc
	s_cbranch_execz .LBB1_140
; %bb.139:                              ;   in Loop: Header=BB1_5 Depth=1
	v_cmp_eq_f32_e32 vcc, v2, v4
	s_waitcnt lgkmcnt(0)
	v_cmp_gt_i32_e64 s[10:11], v6, v5
	s_and_b64 s[10:11], vcc, s[10:11]
	s_andn2_b64 s[12:13], s[12:13], exec
	s_and_b64 s[10:11], s[10:11], exec
	s_or_b64 s[12:13], s[12:13], s[10:11]
.LBB1_140:                              ;   in Loop: Header=BB1_5 Depth=1
	s_or_b64 exec, exec, s[50:51]
	s_and_saveexec_b64 s[10:11], s[12:13]
	s_cbranch_execz .LBB1_142
; %bb.141:                              ;   in Loop: Header=BB1_5 Depth=1
	v_mov_b32_e32 v2, v4
	s_waitcnt lgkmcnt(0)
	v_mov_b32_e32 v6, v5
	ds_write_b32 v13, v4
	ds_write_b32 v12, v5
.LBB1_142:                              ;   in Loop: Header=BB1_5 Depth=1
	s_or_b64 exec, exec, s[10:11]
	ds_read_b32 v4, v13 offset:64
	s_waitcnt lgkmcnt(1)
	;; [unrolled: 28-line block ×6, first 2 shown]
	ds_read_b32 v5, v12 offset:4
	s_waitcnt lgkmcnt(1)
	v_cmp_eq_f32_e64 s[10:11], v2, v4
	s_waitcnt lgkmcnt(0)
	v_cmp_gt_i32_e64 s[12:13], v6, v5
	v_cmp_lt_f32_e32 vcc, v2, v4
	s_and_b64 s[10:11], s[10:11], s[12:13]
	s_or_b64 s[10:11], vcc, s[10:11]
	s_and_b64 exec, exec, s[10:11]
	s_cbranch_execz .LBB1_160
; %bb.159:                              ;   in Loop: Header=BB1_5 Depth=1
	ds_write_b32 v13, v4
	ds_write_b32 v12, v5
.LBB1_160:                              ;   in Loop: Header=BB1_5 Depth=1
	s_or_b64 exec, exec, s[48:49]
.LBB1_161:                              ;   in Loop: Header=BB1_5 Depth=1
	s_and_saveexec_b64 s[10:11], s[0:1]
	s_cbranch_execz .LBB1_163
; %bb.162:                              ;   in Loop: Header=BB1_5 Depth=1
	ds_read_b32 v2, v3 offset:2064
	ds_read_b32 v4, v3 offset:1024
	s_waitcnt lgkmcnt(0)
	v_cmp_lt_f32_e32 vcc, v2, v4
	v_cndmask_b32_e32 v2, v2, v4, vcc
	ds_write_b32 v3, v2 offset:2064
.LBB1_163:                              ;   in Loop: Header=BB1_5 Depth=1
	s_or_b64 exec, exec, s[10:11]
.LBB1_164:                              ;   in Loop: Header=BB1_5 Depth=1
	s_waitcnt lgkmcnt(0)
	s_barrier
	ds_read_b64 v[4:5], v3 offset:2056
	ds_read_b32 v2, v3 offset:2064
	s_waitcnt lgkmcnt(1)
	v_mul_f32_e32 v8, 0x3f23f07b, v5
	s_waitcnt lgkmcnt(0)
	v_div_scale_f32 v6, s[10:11], v2, v2, v5
	v_rcp_f32_e32 v7, v6
	v_fma_f32 v9, -v6, v7, 1.0
	v_fmac_f32_e32 v7, v9, v7
	v_div_scale_f32 v9, vcc, v5, v2, v5
	v_mul_f32_e32 v10, v9, v7
	v_fma_f32 v11, -v6, v10, v9
	v_fmac_f32_e32 v10, v11, v7
	v_fma_f32 v6, -v6, v10, v9
	v_div_fmas_f32 v6, v6, v7, v10
	v_div_fixup_f32 v5, v6, v2, v5
	v_mul_f32_e32 v5, v8, v5
	v_cmp_ge_f32_e32 vcc, v4, v5
	s_cbranch_vccnz .LBB1_170
; %bb.165:                              ;   in Loop: Header=BB1_5 Depth=1
	ds_read_b32 v4, v3 offset:2048
	v_mul_f32_e32 v2, 0x3f23f07b, v2
	s_waitcnt lgkmcnt(0)
	v_readfirstlane_b32 s10, v4
	s_add_i32 s10, s10, s46
	s_ashr_i32 s11, s10, 31
	s_lshl_b64 s[10:11], s[10:11], 2
	s_add_u32 s10, s55, s10
	s_addc_u32 s11, s56, s11
	global_load_dword v5, v3, s[10:11]
	v_readfirstlane_b32 s45, v4
	s_waitcnt vmcnt(0)
	v_cmp_nge_f32_e64 s[10:11], |v5|, v2
	s_and_b64 vcc, exec, s[10:11]
	s_cbranch_vccnz .LBB1_211
; %bb.166:                              ;   in Loop: Header=BB1_5 Depth=1
	s_and_saveexec_b64 s[10:11], s[8:9]
	s_cbranch_execz .LBB1_169
; %bb.167:                              ;   in Loop: Header=BB1_5 Depth=1
	v_add_u32_e32 v4, s44, v0
	v_ashrrev_i32_e32 v5, 31, v4
	v_lshlrev_b64 v[4:5], 2, v[4:5]
	v_add_u32_e32 v6, s46, v0
	v_mov_b32_e32 v2, s71
	v_add_co_u32_e32 v4, vcc, s70, v4
	v_ashrrev_i32_e32 v7, 31, v6
	v_addc_co_u32_e32 v5, vcc, v2, v5, vcc
	v_lshlrev_b64 v[6:7], 2, v[6:7]
	v_add_co_u32_e32 v6, vcc, s70, v6
	v_addc_co_u32_e32 v7, vcc, v2, v7, vcc
	s_mov_b64 s[8:9], 0
	v_mov_b32_e32 v2, v0
.LBB1_168:                              ;   Parent Loop BB1_5 Depth=1
                                        ; =>  This Inner Loop Header: Depth=2
	global_load_dword v8, v[6:7], off
	v_add_u32_e32 v2, 0x100, v2
	v_cmp_lt_i32_e32 vcc, s36, v2
	s_or_b64 s[8:9], vcc, s[8:9]
	s_waitcnt vmcnt(0)
	global_store_dword v[4:5], v8, off
	v_add_co_u32_e32 v4, vcc, 0x400, v4
	v_addc_co_u32_e32 v5, vcc, 0, v5, vcc
	v_add_co_u32_e32 v6, vcc, 0x400, v6
	v_addc_co_u32_e32 v7, vcc, 0, v7, vcc
	s_andn2_b64 exec, exec, s[8:9]
	s_cbranch_execnz .LBB1_168
.LBB1_169:                              ;   in Loop: Header=BB1_5 Depth=1
	s_or_b64 exec, exec, s[10:11]
	s_mov_b64 s[10:11], -1
	s_mov_b32 s8, -1
	s_barrier
	s_add_i32 s48, s8, s36
	s_add_i32 s49, s48, 1
	s_cmp_eq_u32 s45, s49
	s_cbranch_scc0 .LBB1_171
	s_branch .LBB1_186
.LBB1_170:                              ;   in Loop: Header=BB1_5 Depth=1
	s_mov_b64 s[10:11], -1
	s_mov_b32 s8, -1
	s_mov_b32 s45, s36
	s_add_i32 s48, s8, s36
	s_add_i32 s49, s48, 1
	s_cmp_eq_u32 s45, s49
	s_cbranch_scc1 .LBB1_186
.LBB1_171:                              ;   in Loop: Header=BB1_5 Depth=1
	s_and_saveexec_b64 s[8:9], s[0:1]
	s_cbranch_execz .LBB1_173
; %bb.172:                              ;   in Loop: Header=BB1_5 Depth=1
	s_mul_i32 s12, s49, s60
	s_ashr_i32 s13, s12, 31
	s_lshl_b64 s[12:13], s[12:13], 2
	s_add_u32 s12, s20, s12
	s_addc_u32 s13, s33, s13
	global_load_dword v2, v3, s[12:13]
	s_mul_i32 s12, s45, s60
	s_ashr_i32 s13, s12, 31
	s_lshl_b64 s[12:13], s[12:13], 2
	s_add_u32 s12, s20, s12
	s_addc_u32 s13, s33, s13
	s_waitcnt vmcnt(0)
	global_store_dword v3, v2, s[12:13]
.LBB1_173:                              ;   in Loop: Header=BB1_5 Depth=1
	s_or_b64 exec, exec, s[8:9]
	s_sub_i32 s51, s48, s45
	v_cmp_gt_i32_e32 vcc, s51, v0
	s_mul_i32 s50, s49, s21
	s_and_saveexec_b64 s[12:13], vcc
	s_cbranch_execz .LBB1_176
; %bb.174:                              ;   in Loop: Header=BB1_5 Depth=1
	v_add_u32_e32 v2, s45, v1
	s_add_i32 s78, s45, s50
	v_mul_lo_u32 v2, s21, v2
	v_add_u32_e32 v4, s45, v2
	s_add_i32 s78, s78, 1
	s_mov_b64 s[46:47], 0
	v_mov_b32_e32 v2, v0
.LBB1_175:                              ;   Parent Loop BB1_5 Depth=1
                                        ; =>  This Inner Loop Header: Depth=2
	v_add_u32_e32 v6, s78, v2
	v_ashrrev_i32_e32 v7, 31, v6
	v_lshlrev_b64 v[6:7], 2, v[6:7]
	v_mov_b32_e32 v8, s33
	v_add_co_u32_e32 v6, vcc, s20, v6
	v_addc_co_u32_e32 v7, vcc, v8, v7, vcc
	global_load_dword v9, v[6:7], off
	v_ashrrev_i32_e32 v5, 31, v4
	v_add_u32_e32 v2, 0x100, v2
	v_lshlrev_b64 v[6:7], 2, v[4:5]
	v_cmp_le_i32_e32 vcc, s51, v2
	v_add_co_u32_e64 v6, s[8:9], s20, v6
	v_add_u32_e32 v4, s74, v4
	v_addc_co_u32_e64 v7, s[8:9], v8, v7, s[8:9]
	s_or_b64 s[46:47], vcc, s[46:47]
	s_waitcnt vmcnt(0)
	global_store_dword v[6:7], v9, off
	s_andn2_b64 exec, exec, s[46:47]
	s_cbranch_execnz .LBB1_175
.LBB1_176:                              ;   in Loop: Header=BB1_5 Depth=1
	s_or_b64 exec, exec, s[12:13]
	v_cmp_gt_i32_e32 vcc, s45, v0
	s_and_saveexec_b64 s[8:9], vcc
	s_cbranch_execz .LBB1_179
; %bb.177:                              ;   in Loop: Header=BB1_5 Depth=1
	s_mul_i32 s12, s45, s21
	v_add_u32_e32 v4, s12, v0
	v_ashrrev_i32_e32 v5, 31, v4
	v_lshlrev_b64 v[4:5], 2, v[4:5]
	v_add_u32_e32 v6, s50, v0
	v_mov_b32_e32 v2, s73
	v_add_co_u32_e32 v4, vcc, s72, v4
	v_ashrrev_i32_e32 v7, 31, v6
	v_addc_co_u32_e32 v5, vcc, v2, v5, vcc
	v_lshlrev_b64 v[6:7], 2, v[6:7]
	v_add_co_u32_e32 v6, vcc, s72, v6
	v_addc_co_u32_e32 v7, vcc, v2, v7, vcc
	s_mov_b64 s[12:13], 0
	v_mov_b32_e32 v2, v0
.LBB1_178:                              ;   Parent Loop BB1_5 Depth=1
                                        ; =>  This Inner Loop Header: Depth=2
	global_load_dword v8, v[6:7], off
	v_add_u32_e32 v2, 0x100, v2
	v_cmp_le_i32_e32 vcc, s45, v2
	s_or_b64 s[12:13], vcc, s[12:13]
	s_waitcnt vmcnt(0)
	global_store_dword v[4:5], v8, off
	v_add_co_u32_e32 v4, vcc, 0x400, v4
	v_addc_co_u32_e32 v5, vcc, 0, v5, vcc
	v_add_co_u32_e32 v6, vcc, 0x400, v6
	v_addc_co_u32_e32 v7, vcc, 0, v7, vcc
	s_andn2_b64 exec, exec, s[12:13]
	s_cbranch_execnz .LBB1_178
.LBB1_179:                              ;   in Loop: Header=BB1_5 Depth=1
	s_or_b64 exec, exec, s[8:9]
	s_not_b32 s46, s36
	s_add_i32 s46, s46, s22
	v_cmp_gt_i32_e32 vcc, s46, v0
	s_barrier
	s_and_saveexec_b64 s[8:9], vcc
	s_cbranch_execz .LBB1_182
; %bb.180:                              ;   in Loop: Header=BB1_5 Depth=1
	v_add_u32_e32 v2, s36, v1
	s_ashr_i32 s47, s48, 31
	v_mul_lo_u32 v2, s21, v2
	s_mov_b64 s[12:13], 0
	v_mov_b32_e32 v4, v0
.LBB1_181:                              ;   Parent Loop BB1_5 Depth=1
                                        ; =>  This Inner Loop Header: Depth=2
	v_ashrrev_i32_e32 v5, 31, v2
	v_mov_b32_e32 v7, s47
	v_add_co_u32_e32 v8, vcc, s48, v2
	v_addc_co_u32_e32 v9, vcc, v5, v7, vcc
	v_add_u32_e32 v6, s45, v2
	v_lshlrev_b64 v[8:9], 2, v[8:9]
	v_mov_b32_e32 v10, s63
	v_ashrrev_i32_e32 v7, 31, v6
	v_add_co_u32_e32 v8, vcc, s62, v8
	v_lshlrev_b64 v[6:7], 2, v[6:7]
	v_addc_co_u32_e32 v9, vcc, v10, v9, vcc
	v_mov_b32_e32 v11, s33
	v_add_co_u32_e32 v6, vcc, s20, v6
	v_addc_co_u32_e32 v7, vcc, v11, v7, vcc
	global_load_dword v5, v[6:7], off
	global_load_dword v10, v[8:9], off
	v_add_u32_e32 v4, 0x100, v4
	v_cmp_le_i32_e32 vcc, s46, v4
	v_add_u32_e32 v2, s74, v2
	s_or_b64 s[12:13], vcc, s[12:13]
	s_waitcnt vmcnt(1)
	global_store_dword v[8:9], v5, off
	s_waitcnt vmcnt(1)
	global_store_dword v[6:7], v10, off
	s_andn2_b64 exec, exec, s[12:13]
	s_cbranch_execnz .LBB1_181
.LBB1_182:                              ;   in Loop: Header=BB1_5 Depth=1
	s_or_b64 exec, exec, s[8:9]
	s_sub_i32 s46, s22, s49
	v_cmp_gt_i32_e32 vcc, s46, v0
	s_and_saveexec_b64 s[8:9], vcc
	s_cbranch_execz .LBB1_185
; %bb.183:                              ;   in Loop: Header=BB1_5 Depth=1
	v_add_u32_e32 v2, s48, v22
	s_ashr_i32 s47, s48, 31
	v_mul_lo_u32 v2, s22, v2
	s_mov_b64 s[12:13], 0
	v_mov_b32_e32 v4, v0
.LBB1_184:                              ;   Parent Loop BB1_5 Depth=1
                                        ; =>  This Inner Loop Header: Depth=2
	v_ashrrev_i32_e32 v5, 31, v2
	v_mov_b32_e32 v7, s47
	v_add_co_u32_e32 v8, vcc, s48, v2
	v_addc_co_u32_e32 v9, vcc, v5, v7, vcc
	v_add_u32_e32 v6, s45, v2
	v_lshlrev_b64 v[8:9], 2, v[8:9]
	v_mov_b32_e32 v10, s65
	v_ashrrev_i32_e32 v7, 31, v6
	v_add_co_u32_e32 v8, vcc, s64, v8
	v_lshlrev_b64 v[6:7], 2, v[6:7]
	v_addc_co_u32_e32 v9, vcc, v10, v9, vcc
	v_mov_b32_e32 v11, s56
	v_add_co_u32_e32 v6, vcc, s55, v6
	v_addc_co_u32_e32 v7, vcc, v11, v7, vcc
	global_load_dword v5, v[6:7], off
	global_load_dword v10, v[8:9], off
	v_add_u32_e32 v4, 0x100, v4
	v_cmp_le_i32_e32 vcc, s46, v4
	v_add_u32_e32 v2, s75, v2
	s_or_b64 s[12:13], vcc, s[12:13]
	s_waitcnt vmcnt(1)
	global_store_dword v[8:9], v5, off
	s_waitcnt vmcnt(1)
	global_store_dword v[6:7], v10, off
	s_andn2_b64 exec, exec, s[12:13]
	s_cbranch_execnz .LBB1_184
.LBB1_185:                              ;   in Loop: Header=BB1_5 Depth=1
	s_or_b64 exec, exec, s[8:9]
	s_barrier
.LBB1_186:                              ;   in Loop: Header=BB1_5 Depth=1
	s_xor_b64 s[10:11], s[10:11], -1
	s_mov_b64 s[8:9], -1
	s_and_b64 vcc, exec, s[10:11]
                                        ; implicit-def: $sgpr12
	s_cbranch_vccnz .LBB1_190
; %bb.187:                              ;   in Loop: Header=BB1_5 Depth=1
	s_and_b64 vcc, exec, s[8:9]
	s_cbranch_vccnz .LBB1_198
.LBB1_188:                              ;   in Loop: Header=BB1_5 Depth=1
.LBB1_189:                              ;   in Loop: Header=BB1_5 Depth=1
	s_and_saveexec_b64 s[6:7], s[0:1]
	s_cbranch_execz .LBB1_4
	s_branch .LBB1_207
.LBB1_190:                              ;   in Loop: Header=BB1_5 Depth=1
	s_cmp_lt_i32 s36, 2
	s_cbranch_scc1 .LBB1_195
; %bb.191:                              ;   in Loop: Header=BB1_5 Depth=1
	s_add_i32 s46, s36, -2
	v_cmp_ge_i32_e32 vcc, s46, v0
	s_and_saveexec_b64 s[10:11], vcc
	s_cbranch_execz .LBB1_194
; %bb.192:                              ;   in Loop: Header=BB1_5 Depth=1
	s_add_i32 s47, s36, -1
	s_ashr_i32 s9, s44, 31
	s_ashr_i32 s48, s36, 31
	s_add_u32 s8, s44, s36
	s_addc_u32 s9, s9, s48
	s_lshl_b64 s[8:9], s[8:9], 2
	s_add_u32 s8, s66, s8
	s_addc_u32 s9, s67, s9
	s_add_i32 s12, s44, s36
	s_ashr_i32 s13, s12, 31
	s_lshl_b64 s[12:13], s[12:13], 2
	s_add_u32 s12, s55, s12
	s_addc_u32 s13, s56, s13
	global_load_dword v25, v3, s[8:9]
	global_load_dword v2, v3, s[12:13]
	s_add_i32 s8, s77, -1
	s_mul_i32 s49, s8, s22
	s_ashr_i32 s9, s49, 31
	s_add_u32 s8, s49, s36
	s_addc_u32 s9, s9, s48
	s_lshl_b64 s[8:9], s[8:9], 2
	s_add_u32 s8, s66, s8
	s_addc_u32 s9, s67, s9
	global_load_dword v24, v3, s[8:9]
	v_add_u32_e32 v4, s44, v0
	s_mul_i32 s8, s36, s21
	v_ashrrev_i32_e32 v5, 31, v4
	v_add_u32_e32 v6, s8, v0
	v_lshlrev_b64 v[4:5], 2, v[4:5]
	v_mov_b32_e32 v26, s71
	s_mul_i32 s47, s47, s21
	v_ashrrev_i32_e32 v7, 31, v6
	v_add_co_u32_e32 v4, vcc, s70, v4
	v_add_u32_e32 v8, s47, v0
	v_lshlrev_b64 v[6:7], 2, v[6:7]
	v_addc_co_u32_e32 v5, vcc, v26, v5, vcc
	v_mov_b32_e32 v10, s73
	v_ashrrev_i32_e32 v9, 31, v8
	v_add_co_u32_e32 v6, vcc, s72, v6
	v_addc_co_u32_e32 v7, vcc, v10, v7, vcc
	v_lshlrev_b64 v[8:9], 2, v[8:9]
	v_add_co_u32_e32 v8, vcc, s72, v8
	v_addc_co_u32_e32 v9, vcc, v10, v9, vcc
	v_add_u32_e32 v10, s49, v0
	v_ashrrev_i32_e32 v11, 31, v10
	v_lshlrev_b64 v[10:11], 2, v[10:11]
	s_mov_b64 s[12:13], 0
	s_waitcnt vmcnt(1)
	v_div_scale_f32 v27, s[8:9], v25, v25, v2
	v_rcp_f32_e32 v28, v27
	v_div_scale_f32 v29, vcc, v2, v25, v2
	v_fma_f32 v30, -v27, v28, 1.0
	v_fmac_f32_e32 v28, v30, v28
	v_mul_f32_e32 v30, v29, v28
	s_waitcnt vmcnt(0)
	v_div_scale_f32 v31, s[8:9], v25, v25, v24
	v_fma_f32 v33, -v27, v30, v29
	v_rcp_f32_e32 v34, v31
	v_fmac_f32_e32 v30, v33, v28
	v_fma_f32 v27, -v27, v30, v29
	v_div_fmas_f32 v27, v27, v28, v30
	v_div_fixup_f32 v2, v27, v25, v2
	v_fma_f32 v27, -v31, v34, 1.0
	v_div_scale_f32 v32, s[8:9], v24, v25, v24
	v_fmac_f32_e32 v34, v27, v34
	v_mul_f32_e32 v27, v32, v34
	v_fma_f32 v28, -v31, v27, v32
	v_fmac_f32_e32 v27, v28, v34
	v_fma_f32 v28, -v31, v27, v32
	s_mov_b64 vcc, s[8:9]
	v_div_fmas_f32 v27, v28, v34, v27
	v_div_fixup_f32 v24, v27, v25, v24
	v_fma_f32 v27, v2, v24, -1.0
	v_mul_f32_e32 v25, v25, v27
	v_div_scale_f32 v27, s[8:9], v25, v25, 1.0
	v_rcp_f32_e32 v28, v27
	v_add_co_u32_e32 v10, vcc, s70, v10
	v_addc_co_u32_e32 v11, vcc, v26, v11, vcc
	v_fma_f32 v29, -v27, v28, 1.0
	v_div_scale_f32 v26, vcc, 1.0, v25, 1.0
	v_fmac_f32_e32 v28, v29, v28
	v_mul_f32_e32 v29, v26, v28
	v_fma_f32 v30, -v27, v29, v26
	v_fmac_f32_e32 v29, v30, v28
	v_fma_f32 v26, -v27, v29, v26
	v_div_fmas_f32 v26, v26, v28, v29
	v_div_fixup_f32 v25, v26, v25, 1.0
	v_mov_b32_e32 v26, v0
.LBB1_193:                              ;   Parent Loop BB1_5 Depth=1
                                        ; =>  This Inner Loop Header: Depth=2
	global_load_dword v27, v[10:11], off
	global_load_dword v28, v[4:5], off
	v_add_u32_e32 v26, 0x100, v26
	v_cmp_lt_i32_e32 vcc, s46, v26
	s_or_b64 s[12:13], vcc, s[12:13]
	s_waitcnt vmcnt(0)
	v_fma_f32 v27, v2, v27, -v28
	v_mul_f32_e32 v27, v25, v27
	global_store_dword v[8:9], v27, off
	global_load_dword v27, v[4:5], off
	s_nop 0
	global_load_dword v28, v[10:11], off
	s_waitcnt vmcnt(0)
	v_fma_f32 v27, v24, v27, -v28
	v_mul_f32_e32 v27, v25, v27
	global_store_dword v[6:7], v27, off
	v_add_co_u32_e32 v6, vcc, s59, v6
	v_addc_co_u32_e32 v7, vcc, 0, v7, vcc
	v_add_co_u32_e32 v8, vcc, s59, v8
	v_addc_co_u32_e32 v9, vcc, 0, v9, vcc
	;; [unrolled: 2-line block ×4, first 2 shown]
	s_andn2_b64 exec, exec, s[12:13]
	s_cbranch_execnz .LBB1_193
.LBB1_194:                              ;   in Loop: Header=BB1_5 Depth=1
	s_or_b64 exec, exec, s[10:11]
.LBB1_195:                              ;   in Loop: Header=BB1_5 Depth=1
	s_and_saveexec_b64 s[8:9], s[0:1]
	s_cbranch_execz .LBB1_197
; %bb.196:                              ;   in Loop: Header=BB1_5 Depth=1
	s_add_i32 s10, s77, -1
	s_mul_i32 s10, s10, s22
	s_add_i32 s12, s36, -1
	s_ashr_i32 s11, s10, 31
	s_ashr_i32 s46, s36, 31
	s_add_u32 s10, s10, s36
	s_addc_u32 s11, s11, s46
	s_lshl_b64 s[10:11], s[10:11], 2
	s_add_u32 s10, s66, s10
	s_addc_u32 s11, s67, s11
	global_load_dword v2, v3, s[10:11]
	s_mul_i32 s10, s12, s60
	s_ashr_i32 s11, s10, 31
	s_lshl_b64 s[10:11], s[10:11], 2
	s_add_u32 s10, s20, s10
	s_addc_u32 s11, s33, s11
	s_ashr_i32 s13, s44, 31
	s_add_u32 s12, s44, s36
	s_addc_u32 s13, s13, s46
	s_lshl_b64 s[12:13], s[12:13], 2
	s_add_u32 s12, s66, s12
	s_addc_u32 s13, s67, s13
	s_mul_i32 s47, s36, s21
	s_waitcnt vmcnt(0)
	global_store_dword v3, v2, s[10:11]
	global_load_dword v2, v3, s[12:13]
	s_ashr_i32 s11, s47, 31
	s_add_u32 s10, s36, s47
	s_addc_u32 s11, s46, s11
	s_lshl_b64 s[10:11], s[10:11], 2
	s_add_u32 s10, s68, s10
	s_addc_u32 s11, s69, s11
	s_add_i32 s12, s44, s36
	s_ashr_i32 s13, s12, 31
	s_lshl_b64 s[12:13], s[12:13], 2
	s_add_u32 s12, s55, s12
	s_addc_u32 s13, s56, s13
	s_waitcnt vmcnt(0)
	global_store_dword v3, v2, s[10:11]
	global_load_dword v2, v3, s[12:13]
	s_add_i32 s10, s47, s36
	s_ashr_i32 s11, s10, 31
	s_lshl_b64 s[10:11], s[10:11], 2
	s_add_u32 s10, s20, s10
	s_addc_u32 s11, s33, s11
	s_waitcnt vmcnt(0)
	global_store_dword v3, v2, s[10:11]
.LBB1_197:                              ;   in Loop: Header=BB1_5 Depth=1
	s_or_b64 exec, exec, s[8:9]
	s_mov_b64 s[8:9], 0
	s_mov_b32 s12, -2
	s_barrier
	s_branch .LBB1_188
.LBB1_198:                              ;   in Loop: Header=BB1_5 Depth=1
	s_add_i32 s8, s44, s36
	s_ashr_i32 s9, s8, 31
	s_lshl_b64 s[8:9], s[8:9], 2
	s_add_u32 s8, s55, s8
	s_addc_u32 s9, s56, s9
	global_load_dword v2, v3, s[8:9]
	s_and_saveexec_b64 s[8:9], s[0:1]
	s_cbranch_execz .LBB1_200
; %bb.199:                              ;   in Loop: Header=BB1_5 Depth=1
	s_mul_i32 s10, s36, s60
	s_ashr_i32 s11, s10, 31
	s_lshl_b64 s[10:11], s[10:11], 2
	s_add_u32 s10, s20, s10
	s_addc_u32 s11, s33, s11
	s_waitcnt vmcnt(0)
	global_store_dword v3, v2, s[10:11]
.LBB1_200:                              ;   in Loop: Header=BB1_5 Depth=1
	s_or_b64 exec, exec, s[8:9]
	s_and_saveexec_b64 s[8:9], s[6:7]
	s_cbranch_execz .LBB1_203
; %bb.201:                              ;   in Loop: Header=BB1_5 Depth=1
	s_waitcnt vmcnt(0)
	v_div_scale_f32 v4, s[6:7], v2, v2, 1.0
	v_rcp_f32_e32 v5, v4
	v_div_scale_f32 v6, vcc, 1.0, v2, 1.0
	s_mul_i32 s6, s36, s21
	v_fma_f32 v7, -v4, v5, 1.0
	v_fmac_f32_e32 v5, v7, v5
	v_mul_f32_e32 v7, v6, v5
	v_fma_f32 v8, -v4, v7, v6
	v_fmac_f32_e32 v7, v8, v5
	v_fma_f32 v4, -v4, v7, v6
	v_div_fmas_f32 v4, v4, v5, v7
	v_div_fixup_f32 v2, v4, v2, 1.0
	v_add_u32_e32 v4, s6, v0
	v_ashrrev_i32_e32 v5, 31, v4
	v_lshlrev_b64 v[4:5], 2, v[4:5]
	v_mov_b32_e32 v6, s73
	v_add_co_u32_e32 v4, vcc, s72, v4
	v_addc_co_u32_e32 v5, vcc, v6, v5, vcc
	v_add_u32_e32 v6, s44, v0
	v_ashrrev_i32_e32 v7, 31, v6
	v_lshlrev_b64 v[6:7], 2, v[6:7]
	v_mov_b32_e32 v8, s71
	v_add_co_u32_e32 v6, vcc, s70, v6
	v_addc_co_u32_e32 v7, vcc, v8, v7, vcc
	s_mov_b64 s[6:7], 0
	v_mov_b32_e32 v8, v0
.LBB1_202:                              ;   Parent Loop BB1_5 Depth=1
                                        ; =>  This Inner Loop Header: Depth=2
	global_load_dword v9, v[6:7], off
	v_add_u32_e32 v8, 0x100, v8
	v_cmp_le_i32_e32 vcc, s36, v8
	s_or_b64 s[6:7], vcc, s[6:7]
	s_waitcnt vmcnt(0)
	v_mul_f32_e32 v9, v2, v9
	global_store_dword v[4:5], v9, off
	v_add_co_u32_e32 v4, vcc, 0x400, v4
	v_addc_co_u32_e32 v5, vcc, 0, v5, vcc
	v_add_co_u32_e32 v6, vcc, 0x400, v6
	v_addc_co_u32_e32 v7, vcc, 0, v7, vcc
	s_andn2_b64 exec, exec, s[6:7]
	s_cbranch_execnz .LBB1_202
.LBB1_203:                              ;   in Loop: Header=BB1_5 Depth=1
	s_or_b64 exec, exec, s[8:9]
	s_mov_b64 s[8:9], -1
	s_mov_b32 s12, -1
	s_barrier
	s_branch .LBB1_189
.LBB1_204:                              ;   in Loop: Header=BB1_5 Depth=1
	s_waitcnt vmcnt(0)
	ds_read_b32 v2, v3 offset:2052
	s_waitcnt lgkmcnt(0)
	v_readfirstlane_b32 s6, v2
	s_cmp_eq_u32 s6, 0
	s_cselect_b64 s[6:7], -1, 0
	s_and_b64 s[8:9], s[0:1], s[6:7]
	s_and_saveexec_b64 s[6:7], s[8:9]
	s_cbranch_execz .LBB1_206
; %bb.205:                              ;   in Loop: Header=BB1_5 Depth=1
	s_add_i32 s8, s36, 1
	v_mov_b32_e32 v2, s8
	ds_write_b32 v3, v2 offset:2052
.LBB1_206:                              ;   in Loop: Header=BB1_5 Depth=1
	s_or_b64 exec, exec, s[6:7]
	s_mov_b32 s12, -1
	s_mov_b64 s[8:9], -1
	s_mov_b32 s45, s36
	s_and_saveexec_b64 s[6:7], s[0:1]
	s_cbranch_execz .LBB1_4
.LBB1_207:                              ;   in Loop: Header=BB1_5 Depth=1
	s_xor_b64 s[46:47], s[8:9], -1
	s_lshl_b64 s[8:9], s[36:37], 2
	s_add_u32 s8, s52, s8
	s_addc_u32 s9, s53, s9
	s_mov_b64 s[10:11], -1
	s_and_b64 vcc, exec, s[46:47]
	s_cbranch_vccz .LBB1_209
; %bb.208:                              ;   in Loop: Header=BB1_5 Depth=1
	s_not_b32 s10, s45
	v_mov_b32_e32 v4, s10
	v_mov_b32_e32 v5, s10
	global_store_dwordx2 v3, v[4:5], s[8:9] offset:-4
	s_mov_b64 s[10:11], 0
.LBB1_209:                              ;   in Loop: Header=BB1_5 Depth=1
	s_andn2_b64 vcc, exec, s[10:11]
	s_cbranch_vccnz .LBB1_4
; %bb.210:                              ;   in Loop: Header=BB1_5 Depth=1
	s_add_i32 s10, s45, 1
	s_waitcnt vmcnt(0)
	v_mov_b32_e32 v2, s10
	global_store_dword v3, v2, s[8:9]
	s_branch .LBB1_4
.LBB1_211:                              ;   in Loop: Header=BB1_5 Depth=1
	s_mov_b64 s[10:11], 0
	s_mov_b32 s8, -2
	s_add_i32 s48, s8, s36
	s_add_i32 s49, s48, 1
	s_cmp_eq_u32 s45, s49
	s_cbranch_scc0 .LBB1_171
	s_branch .LBB1_186
.LBB1_212:
	s_add_i32 s6, s77, 1
.LBB1_213:
	s_and_saveexec_b64 s[2:3], s[0:1]
	s_cbranch_execz .LBB1_215
; %bb.214:
	s_lshl_b64 s[0:1], s[34:35], 2
	s_add_u32 s4, s16, s0
	s_addc_u32 s5, s17, s1
	s_waitcnt vmcnt(0)
	v_mov_b32_e32 v2, 0
	s_add_u32 s0, s14, s0
	ds_read_b32 v3, v2 offset:2052
	s_addc_u32 s1, s15, s1
	s_not_b32 s7, s36
	s_add_i32 s7, s7, s22
	v_mov_b32_e32 v4, s7
	global_store_dword v2, v4, s[4:5]
	s_waitcnt lgkmcnt(0)
	global_store_dword v2, v3, s[0:1]
.LBB1_215:
	s_or_b64 exec, exec, s[2:3]
	s_abs_i32 s0, s23
	s_waitcnt vmcnt(0)
	v_cvt_f32_u32_e32 v2, s0
	s_sub_i32 s3, 0, s0
	s_abs_i32 s2, s36
	s_ashr_i32 s1, s36, 31
	v_rcp_iflag_f32_e32 v2, v2
	s_mov_b32 s5, 0
	v_mul_f32_e32 v2, 0x4f7ffffe, v2
	v_cvt_u32_f32_e32 v2, v2
	v_readfirstlane_b32 s4, v2
	s_mul_i32 s3, s3, s4
	s_mul_hi_u32 s3, s4, s3
	s_add_i32 s4, s4, s3
	s_mul_hi_u32 s3, s2, s4
	s_mul_i32 s3, s3, s0
	s_sub_i32 s2, s2, s3
	s_sub_i32 s3, s2, s0
	s_cmp_ge_u32 s2, s0
	s_cselect_b32 s2, s3, s2
	s_sub_i32 s3, s2, s0
	s_cmp_ge_u32 s2, s0
	s_cselect_b32 s0, s3, s2
	s_xor_b32 s0, s0, s1
	s_sub_i32 s0, s1, s0
	s_add_i32 s4, s36, s0
	s_add_i32 s2, s36, 1
	s_cmp_lt_i32 s4, 0
	s_cbranch_scc1 .LBB1_233
; %bb.216:
	s_mul_i32 s6, s6, s22
	s_not_b32 s3, s36
	s_mul_i32 s0, s2, s21
	s_ashr_i32 s7, s6, 31
	s_add_i32 s3, s3, s22
	s_ashr_i32 s1, s0, 31
	s_lshl_b64 s[8:9], s[6:7], 2
	s_add_u32 s34, s55, s8
	s_addc_u32 s35, s56, s9
	s_cmp_gt_i32 s3, 0
	s_cselect_b64 s[6:7], -1, 0
	s_lshl_b64 s[0:1], s[0:1], 2
	s_add_u32 s36, s20, s0
	s_addc_u32 s37, s33, s1
	s_add_u32 s8, s30, s8
	s_addc_u32 s9, s31, s9
	;; [unrolled: 2-line block ×3, first 2 shown]
	s_ashr_i32 s9, s22, 31
	s_mov_b32 s8, s22
	s_lshl_b64 s[8:9], s[8:9], 2
	s_add_u32 s10, s26, s28
	s_addc_u32 s11, s27, s29
	s_add_u32 s0, s10, s0
	s_addc_u32 s1, s11, s1
	;; [unrolled: 2-line block ×3, first 2 shown]
	v_mov_b32_e32 v2, s1
	v_add_co_u32_e32 v10, vcc, s0, v12
	s_ashr_i32 s1, s21, 31
	s_mov_b32 s0, s21
	s_lshl_b64 s[10:11], s[0:1], 2
	v_mov_b32_e32 v3, 0
	v_addc_co_u32_e32 v11, vcc, 0, v2, vcc
	v_mov_b32_e32 v12, s11
	s_branch .LBB1_218
.LBB1_217:                              ;   in Loop: Header=BB1_218 Depth=1
	s_or_b64 exec, exec, s[0:1]
	s_sub_i32 s4, s4, s23
	s_cmp_gt_i32 s4, -1
	s_cbranch_scc0 .LBB1_233
.LBB1_218:                              ; =>This Loop Header: Depth=1
                                        ;     Child Loop BB1_221 Depth 2
                                        ;       Child Loop BB1_224 Depth 3
                                        ;         Child Loop BB1_226 Depth 4
                                        ;     Child Loop BB1_230 Depth 2
                                        ;       Child Loop BB1_232 Depth 3
	s_sub_i32 s0, s2, s4
	s_min_i32 s11, s0, s23
	s_cmp_lt_i32 s11, 1
	s_cbranch_scc1 .LBB1_227
; %bb.219:                              ;   in Loop: Header=BB1_218 Depth=1
	s_lshl_b64 s[0:1], s[4:5], 2
	s_add_u32 s12, s24, s0
	s_addc_u32 s13, s25, s1
	s_add_i32 s18, s11, s4
	v_mov_b32_e32 v2, s1
	v_add_co_u32_e32 v4, vcc, s0, v10
	s_add_u32 s19, s20, s0
	v_addc_co_u32_e32 v5, vcc, v11, v2, vcc
	s_addc_u32 s26, s33, s1
	s_mov_b32 s27, s4
	s_branch .LBB1_221
.LBB1_220:                              ;   in Loop: Header=BB1_221 Depth=2
	s_or_b64 exec, exec, s[14:15]
	s_add_i32 s27, s27, 1
	s_add_u32 s12, s12, 4
	s_addc_u32 s13, s13, 0
	s_cmp_lt_i32 s27, s18
	s_cbranch_scc0 .LBB1_227
.LBB1_221:                              ;   Parent Loop BB1_218 Depth=1
                                        ; =>  This Loop Header: Depth=2
                                        ;       Child Loop BB1_224 Depth 3
                                        ;         Child Loop BB1_226 Depth 4
	s_sub_i32 s28, s27, s4
	v_cmp_ge_i32_e32 vcc, s28, v0
	s_and_saveexec_b64 s[14:15], vcc
	s_cbranch_execz .LBB1_220
; %bb.222:                              ;   in Loop: Header=BB1_221 Depth=2
	s_mul_i32 s0, s27, s21
	s_ashr_i32 s1, s0, 31
	s_lshl_b64 s[0:1], s[0:1], 2
	s_add_u32 s29, s19, s0
	s_addc_u32 s0, s26, s1
	s_mov_b64 s[16:17], 0
	v_mov_b32_e32 v13, s0
	v_pk_mov_b32 v[6:7], v[4:5], v[4:5] op_sel:[0,1]
	v_mov_b32_e32 v2, v0
	s_branch .LBB1_224
.LBB1_223:                              ;   in Loop: Header=BB1_224 Depth=3
	v_lshlrev_b64 v[8:9], 2, v[2:3]
	v_add_co_u32_e32 v8, vcc, s29, v8
	v_addc_co_u32_e32 v9, vcc, v13, v9, vcc
	global_load_dword v15, v[8:9], off
	v_add_u32_e32 v2, 0x100, v2
	v_add_co_u32_e32 v6, vcc, 0x400, v6
	v_cmp_lt_i32_e64 s[0:1], s28, v2
	s_or_b64 s[16:17], s[0:1], s[16:17]
	v_addc_co_u32_e32 v7, vcc, 0, v7, vcc
	s_waitcnt vmcnt(0)
	v_sub_f32_e32 v14, v15, v14
	global_store_dword v[8:9], v14, off
	s_andn2_b64 exec, exec, s[16:17]
	s_cbranch_execz .LBB1_220
.LBB1_224:                              ;   Parent Loop BB1_218 Depth=1
                                        ;     Parent Loop BB1_221 Depth=2
                                        ; =>    This Loop Header: Depth=3
                                        ;         Child Loop BB1_226 Depth 4
	v_mov_b32_e32 v14, 0
	s_andn2_b64 vcc, exec, s[6:7]
	s_cbranch_vccnz .LBB1_223
; %bb.225:                              ;   in Loop: Header=BB1_224 Depth=3
	v_pk_mov_b32 v[8:9], v[6:7], v[6:7] op_sel:[0,1]
	s_mov_b64 s[0:1], s[12:13]
	s_mov_b32 s30, s3
.LBB1_226:                              ;   Parent Loop BB1_218 Depth=1
                                        ;     Parent Loop BB1_221 Depth=2
                                        ;       Parent Loop BB1_224 Depth=3
                                        ; =>      This Inner Loop Header: Depth=4
	global_load_dword v15, v[8:9], off
	global_load_dword v16, v3, s[0:1]
	s_add_i32 s30, s30, -1
	s_add_u32 s0, s0, s8
	v_add_co_u32_e32 v8, vcc, s10, v8
	s_addc_u32 s1, s1, s9
	v_addc_co_u32_e32 v9, vcc, v9, v12, vcc
	s_cmp_eq_u32 s30, 0
	s_waitcnt vmcnt(0)
	v_fmac_f32_e32 v14, v15, v16
	s_cbranch_scc0 .LBB1_226
	s_branch .LBB1_223
.LBB1_227:                              ;   in Loop: Header=BB1_218 Depth=1
	s_mul_i32 s11, s11, s4
	v_cmp_gt_i32_e32 vcc, s11, v0
	s_and_saveexec_b64 s[0:1], vcc
	s_cbranch_execz .LBB1_217
; %bb.228:                              ;   in Loop: Header=BB1_218 Depth=1
	s_lshl_b64 s[12:13], s[4:5], 2
	s_add_u32 s14, s34, s12
	s_mul_i32 s12, s4, s21
	s_addc_u32 s15, s35, s13
	s_ashr_i32 s13, s12, 31
	s_lshl_b64 s[12:13], s[12:13], 2
	s_add_u32 s16, s20, s12
	s_addc_u32 s17, s33, s13
	s_abs_i32 s18, s4
	v_cvt_f32_u32_e32 v2, s18
	s_sub_i32 s26, 0, s18
	s_mov_b64 s[12:13], 0
	s_ashr_i32 s19, s4, 31
	v_rcp_iflag_f32_e32 v2, v2
	v_mov_b32_e32 v9, v0
	v_mul_f32_e32 v2, 0x4f7ffffe, v2
	v_cvt_u32_f32_e32 v2, v2
	v_mul_lo_u32 v4, s26, v2
	v_mul_hi_u32 v4, v2, v4
	v_add_u32_e32 v8, v2, v4
	s_branch .LBB1_230
.LBB1_229:                              ;   in Loop: Header=BB1_230 Depth=2
	v_mad_u64_u32 v[4:5], s[26:27], v14, s21, v[2:3]
	v_ashrrev_i32_e32 v5, 31, v4
	v_lshlrev_b64 v[4:5], 2, v[4:5]
	v_mov_b32_e32 v2, s17
	v_add_co_u32_e32 v4, vcc, s16, v4
	v_addc_co_u32_e32 v5, vcc, v2, v5, vcc
	global_load_dword v2, v[4:5], off
	v_add_u32_e32 v9, 0x100, v9
	v_cmp_le_i32_e32 vcc, s11, v9
	s_or_b64 s[12:13], vcc, s[12:13]
	s_waitcnt vmcnt(0)
	v_sub_f32_e32 v2, v2, v13
	global_store_dword v[4:5], v2, off
	s_andn2_b64 exec, exec, s[12:13]
	s_cbranch_execz .LBB1_217
.LBB1_230:                              ;   Parent Loop BB1_218 Depth=1
                                        ; =>  This Loop Header: Depth=2
                                        ;       Child Loop BB1_232 Depth 3
	v_mul_hi_u32 v2, v9, v8
	v_mul_lo_u32 v4, v2, s18
	v_sub_u32_e32 v4, v9, v4
	v_add_u32_e32 v5, 1, v2
	v_cmp_le_u32_e32 vcc, s18, v4
	v_cndmask_b32_e32 v2, v2, v5, vcc
	v_subrev_u32_e32 v5, s18, v4
	v_cndmask_b32_e32 v4, v4, v5, vcc
	v_add_u32_e32 v5, 1, v2
	v_cmp_le_u32_e32 vcc, s18, v4
	v_cndmask_b32_e32 v2, v2, v5, vcc
	v_xor_b32_e32 v2, s19, v2
	v_subrev_u32_e32 v14, s19, v2
	v_mul_lo_u32 v2, v14, s4
	s_andn2_b64 vcc, exec, s[6:7]
	v_sub_u32_e32 v2, v9, v2
	v_mov_b32_e32 v13, 0
	s_cbranch_vccnz .LBB1_229
; %bb.231:                              ;   in Loop: Header=BB1_230 Depth=2
	v_mov_b32_e32 v4, v2
	v_mov_b32_e32 v6, v14
	s_mov_b32 s26, s3
.LBB1_232:                              ;   Parent Loop BB1_218 Depth=1
                                        ;     Parent Loop BB1_230 Depth=2
                                        ; =>    This Inner Loop Header: Depth=3
	v_ashrrev_i32_e32 v5, 31, v4
	v_lshlrev_b64 v[16:17], 2, v[4:5]
	v_mov_b32_e32 v5, s37
	v_add_co_u32_e32 v16, vcc, s36, v16
	v_addc_co_u32_e32 v17, vcc, v5, v17, vcc
	v_ashrrev_i32_e32 v7, 31, v6
	global_load_dword v5, v[16:17], off
	v_lshlrev_b64 v[16:17], 2, v[6:7]
	v_mov_b32_e32 v7, s15
	v_add_co_u32_e32 v16, vcc, s14, v16
	v_addc_co_u32_e32 v17, vcc, v7, v17, vcc
	global_load_dword v7, v[16:17], off
	s_add_i32 s26, s26, -1
	v_add_u32_e32 v6, s22, v6
	s_cmp_eq_u32 s26, 0
	v_add_u32_e32 v4, s21, v4
	s_waitcnt vmcnt(0)
	v_fmac_f32_e32 v13, v5, v7
	s_cbranch_scc0 .LBB1_232
	s_branch .LBB1_229
.LBB1_233:
	s_cmp_ge_i32 s2, s54
	s_waitcnt lgkmcnt(0)
	s_barrier
	s_cbranch_scc1 .LBB1_241
; %bb.234:
	s_lshl_b32 s6, s21, 8
	v_mov_b32_e32 v2, 0
	s_branch .LBB1_237
.LBB1_235:                              ;   in Loop: Header=BB1_237 Depth=1
	s_or_b64 exec, exec, s[0:1]
	s_barrier
.LBB1_236:                              ;   in Loop: Header=BB1_237 Depth=1
	s_cmp_lt_i32 s3, s54
	s_mov_b32 s2, s3
	s_cbranch_scc0 .LBB1_241
.LBB1_237:                              ; =>This Loop Header: Depth=1
                                        ;     Child Loop BB1_240 Depth 2
	s_ashr_i32 s3, s2, 31
	s_lshl_b64 s[0:1], s[2:3], 2
	s_add_u32 s0, s52, s0
	s_addc_u32 s1, s53, s1
	global_load_dword v3, v2, s[0:1]
	s_waitcnt vmcnt(0)
	v_readfirstlane_b32 s0, v3
	s_not_b32 s1, s0
	s_add_i32 s3, s0, -1
	s_cmp_lt_i32 s0, 0
	s_cselect_b32 s7, s1, s3
	s_lshr_b32 s0, s0, 31
	s_add_i32 s4, s2, s0
	s_add_i32 s3, s4, 1
	s_cmp_eq_u32 s7, s2
	s_cselect_b64 s[0:1], -1, 0
	s_cmp_le_i32 s22, s3
	s_cselect_b64 s[8:9], -1, 0
	s_or_b64 s[0:1], s[0:1], s[8:9]
	s_and_b64 vcc, exec, s[0:1]
	s_cbranch_vccnz .LBB1_236
; %bb.238:                              ;   in Loop: Header=BB1_237 Depth=1
	s_sub_i32 s8, s22, s3
	v_cmp_gt_i32_e32 vcc, s8, v0
	s_and_saveexec_b64 s[0:1], vcc
	s_cbranch_execz .LBB1_235
; %bb.239:                              ;   in Loop: Header=BB1_237 Depth=1
	v_add_u32_e32 v3, s4, v1
	v_mul_lo_u32 v3, s21, v3
	s_mov_b64 s[4:5], 0
	v_mov_b32_e32 v4, v0
.LBB1_240:                              ;   Parent Loop BB1_237 Depth=1
                                        ; =>  This Inner Loop Header: Depth=2
	v_add_u32_e32 v6, s7, v3
	v_ashrrev_i32_e32 v7, 31, v6
	v_add_u32_e32 v8, s2, v3
	v_lshlrev_b64 v[6:7], 2, v[6:7]
	v_mov_b32_e32 v5, s33
	v_ashrrev_i32_e32 v9, 31, v8
	v_add_co_u32_e32 v6, vcc, s20, v6
	v_lshlrev_b64 v[8:9], 2, v[8:9]
	v_addc_co_u32_e32 v7, vcc, v5, v7, vcc
	v_mov_b32_e32 v10, s33
	v_add_co_u32_e32 v8, vcc, s20, v8
	v_addc_co_u32_e32 v9, vcc, v10, v9, vcc
	global_load_dword v5, v[8:9], off
	global_load_dword v10, v[6:7], off
	v_add_u32_e32 v4, 0x100, v4
	v_cmp_le_i32_e32 vcc, s8, v4
	v_add_u32_e32 v3, s6, v3
	s_or_b64 s[4:5], vcc, s[4:5]
	s_waitcnt vmcnt(1)
	global_store_dword v[6:7], v5, off
	s_waitcnt vmcnt(1)
	global_store_dword v[8:9], v10, off
	s_andn2_b64 exec, exec, s[4:5]
	s_cbranch_execnz .LBB1_240
	s_branch .LBB1_235
.LBB1_241:
	s_endpgm
	.section	.rodata,"a",@progbits
	.p2align	6, 0x0
	.amdhsa_kernel _ZN9rocsolver6v33100L18lasyf_kernel_upperIfPfEEviiPiT0_iilS3_lS3_PT_
		.amdhsa_group_segment_fixed_size 2068
		.amdhsa_private_segment_fixed_size 0
		.amdhsa_kernarg_size 72
		.amdhsa_user_sgpr_count 6
		.amdhsa_user_sgpr_private_segment_buffer 1
		.amdhsa_user_sgpr_dispatch_ptr 0
		.amdhsa_user_sgpr_queue_ptr 0
		.amdhsa_user_sgpr_kernarg_segment_ptr 1
		.amdhsa_user_sgpr_dispatch_id 0
		.amdhsa_user_sgpr_flat_scratch_init 0
		.amdhsa_user_sgpr_kernarg_preload_length 0
		.amdhsa_user_sgpr_kernarg_preload_offset 0
		.amdhsa_user_sgpr_private_segment_size 0
		.amdhsa_uses_dynamic_stack 0
		.amdhsa_system_sgpr_private_segment_wavefront_offset 0
		.amdhsa_system_sgpr_workgroup_id_x 1
		.amdhsa_system_sgpr_workgroup_id_y 1
		.amdhsa_system_sgpr_workgroup_id_z 0
		.amdhsa_system_sgpr_workgroup_info 0
		.amdhsa_system_vgpr_workitem_id 0
		.amdhsa_next_free_vgpr 35
		.amdhsa_next_free_sgpr 81
		.amdhsa_accum_offset 36
		.amdhsa_reserve_vcc 1
		.amdhsa_reserve_flat_scratch 0
		.amdhsa_float_round_mode_32 0
		.amdhsa_float_round_mode_16_64 0
		.amdhsa_float_denorm_mode_32 3
		.amdhsa_float_denorm_mode_16_64 3
		.amdhsa_dx10_clamp 1
		.amdhsa_ieee_mode 1
		.amdhsa_fp16_overflow 0
		.amdhsa_tg_split 0
		.amdhsa_exception_fp_ieee_invalid_op 0
		.amdhsa_exception_fp_denorm_src 0
		.amdhsa_exception_fp_ieee_div_zero 0
		.amdhsa_exception_fp_ieee_overflow 0
		.amdhsa_exception_fp_ieee_underflow 0
		.amdhsa_exception_fp_ieee_inexact 0
		.amdhsa_exception_int_div_zero 0
	.end_amdhsa_kernel
	.section	.text._ZN9rocsolver6v33100L18lasyf_kernel_upperIfPfEEviiPiT0_iilS3_lS3_PT_,"axG",@progbits,_ZN9rocsolver6v33100L18lasyf_kernel_upperIfPfEEviiPiT0_iilS3_lS3_PT_,comdat
.Lfunc_end1:
	.size	_ZN9rocsolver6v33100L18lasyf_kernel_upperIfPfEEviiPiT0_iilS3_lS3_PT_, .Lfunc_end1-_ZN9rocsolver6v33100L18lasyf_kernel_upperIfPfEEviiPiT0_iilS3_lS3_PT_
                                        ; -- End function
	.section	.AMDGPU.csdata,"",@progbits
; Kernel info:
; codeLenInByte = 9332
; NumSgprs: 85
; NumVgprs: 35
; NumAgprs: 0
; TotalNumVgprs: 35
; ScratchSize: 0
; MemoryBound: 0
; FloatMode: 240
; IeeeMode: 1
; LDSByteSize: 2068 bytes/workgroup (compile time only)
; SGPRBlocks: 10
; VGPRBlocks: 4
; NumSGPRsForWavesPerEU: 85
; NumVGPRsForWavesPerEU: 35
; AccumOffset: 36
; Occupancy: 8
; WaveLimiterHint : 1
; COMPUTE_PGM_RSRC2:SCRATCH_EN: 0
; COMPUTE_PGM_RSRC2:USER_SGPR: 6
; COMPUTE_PGM_RSRC2:TRAP_HANDLER: 0
; COMPUTE_PGM_RSRC2:TGID_X_EN: 1
; COMPUTE_PGM_RSRC2:TGID_Y_EN: 1
; COMPUTE_PGM_RSRC2:TGID_Z_EN: 0
; COMPUTE_PGM_RSRC2:TIDIG_COMP_CNT: 0
; COMPUTE_PGM_RSRC3_GFX90A:ACCUM_OFFSET: 8
; COMPUTE_PGM_RSRC3_GFX90A:TG_SPLIT: 0
	.section	.text._ZN9rocsolver6v33100L18lasyf_kernel_lowerIfPfEEviiPiT0_iilS3_lS3_PT_,"axG",@progbits,_ZN9rocsolver6v33100L18lasyf_kernel_lowerIfPfEEviiPiT0_iilS3_lS3_PT_,comdat
	.globl	_ZN9rocsolver6v33100L18lasyf_kernel_lowerIfPfEEviiPiT0_iilS3_lS3_PT_ ; -- Begin function _ZN9rocsolver6v33100L18lasyf_kernel_lowerIfPfEEviiPiT0_iilS3_lS3_PT_
	.p2align	8
	.type	_ZN9rocsolver6v33100L18lasyf_kernel_lowerIfPfEEviiPiT0_iilS3_lS3_PT_,@function
_ZN9rocsolver6v33100L18lasyf_kernel_lowerIfPfEEviiPiT0_iilS3_lS3_PT_: ; @_ZN9rocsolver6v33100L18lasyf_kernel_lowerIfPfEEviiPiT0_iilS3_lS3_PT_
; %bb.0:
	s_mov_b32 s34, s7
	v_cmp_eq_u32_e64 s[0:1], 0, v0
	s_and_saveexec_b64 s[2:3], s[0:1]
	s_cbranch_execz .LBB2_2
; %bb.1:
	v_mov_b32_e32 v1, 0
	ds_write_b32 v1, v1 offset:2052
.LBB2_2:
	s_or_b64 exec, exec, s[2:3]
	s_load_dwordx2 s[20:21], s[4:5], 0x18
	s_load_dwordx2 s[22:23], s[4:5], 0x0
	s_load_dwordx4 s[16:19], s[4:5], 0x8
	s_load_dwordx8 s[8:15], s[4:5], 0x20
	s_load_dwordx2 s[26:27], s[4:5], 0x40
	s_ashr_i32 s35, s34, 31
	s_waitcnt lgkmcnt(0)
	s_ashr_i32 s3, s20, 31
	s_mov_b32 s2, s20
	s_mul_i32 s4, s34, s9
	s_mul_hi_u32 s5, s34, s8
	s_add_i32 s4, s5, s4
	s_mul_i32 s5, s35, s8
	s_add_i32 s5, s4, s5
	s_mul_i32 s4, s34, s8
	s_lshl_b64 s[28:29], s[4:5], 2
	s_add_u32 s4, s18, s28
	s_addc_u32 s5, s19, s29
	s_lshl_b64 s[30:31], s[2:3], 2
	s_mul_i32 s2, s34, s22
	s_add_u32 s20, s4, s30
	s_mul_i32 s2, s2, s23
	s_addc_u32 s33, s5, s31
	s_ashr_i32 s3, s2, 31
	s_lshl_b64 s[36:37], s[2:3], 2
	s_add_u32 s24, s26, s36
	s_mul_i32 s2, s34, s13
	s_mul_hi_u32 s3, s34, s12
	s_addc_u32 s25, s27, s37
	s_add_i32 s2, s3, s2
	s_mul_i32 s3, s35, s12
	s_add_i32 s3, s2, s3
	s_mul_i32 s2, s34, s12
	s_lshl_b64 s[2:3], s[2:3], 2
	s_add_u32 s60, s10, s2
	s_addc_u32 s61, s11, s3
	s_cmp_lt_i32 s22, 1
	v_lshlrev_b32_e32 v24, 2, v0
	v_mul_lo_u32 v26, v0, s21
	s_cbranch_scc1 .LBB2_242
; %bb.3:
	s_add_i32 s62, s23, -1
	s_cmp_eq_u32 s23, s22
	s_cselect_b64 s[38:39], -1, 0
	s_add_i32 s64, s22, -1
	s_add_i32 s65, s21, 1
	s_add_i32 s66, s22, -2
	s_add_i32 s67, s22, 1
	s_add_u32 s68, s20, -4
	s_addc_u32 s69, s33, -1
	s_add_u32 s70, s26, s36
	s_addc_u32 s71, s27, s37
	s_add_u32 s6, s28, s30
	s_addc_u32 s7, s29, s31
	;; [unrolled: 2-line block ×3, first 2 shown]
	v_mov_b32_e32 v27, s73
	v_add_co_u32_e32 v28, vcc, s72, v24
	s_mov_b32 s7, 0
	s_mov_b32 s6, s22
	v_addc_co_u32_e32 v29, vcc, 0, v27, vcc
	s_lshl_b64 s[40:41], s[6:7], 2
	s_ashr_i32 s7, s21, 31
	s_mov_b32 s6, s21
	v_mov_b32_e32 v30, s71
	v_add_co_u32_e32 v31, vcc, s70, v24
	s_lshl_b64 s[42:43], s[6:7], 2
	v_addc_co_u32_e32 v32, vcc, 0, v30, vcc
	s_lshl_b32 s6, s22, 8
	s_movk_i32 s2, 0x80
	v_add_u32_e32 v25, 2, v0
	v_add_co_u32_e32 v33, vcc, 4, v31
	v_mul_lo_u32 v4, v0, s22
	s_ashr_i32 s7, s6, 31
	v_mov_b32_e32 v7, 0
	s_movk_i32 s63, 0x400
	v_or_b32_e32 v5, 0x400, v24
	v_cmp_gt_u32_e64 s[2:3], s2, v0
	v_cmp_gt_u32_e64 s[4:5], 64, v0
	v_addc_co_u32_e32 v34, vcc, 0, v32, vcc
	s_lshl_b32 s74, s21, 8
	v_mul_lo_u32 v35, v0, s21
	v_ashrrev_i32_e32 v1, 31, v4
	s_lshl_b64 s[44:45], s[6:7], 2
	v_add_u32_e32 v36, s21, v25
	s_mov_b64 s[46:47], 0
	s_brev_b32 s75, -2
	v_mov_b32_e32 v2, v7
                                        ; implicit-def: $sgpr48_sgpr49
	s_branch .LBB2_6
.LBB2_4:                                ;   in Loop: Header=BB2_6 Depth=1
	s_or_b64 exec, exec, s[6:7]
	v_add_u32_e32 v2, v3, v2
	v_cmp_le_i32_e32 vcc, s22, v2
	s_andn2_b64 s[6:7], s[48:49], exec
	s_and_b64 s[8:9], vcc, exec
	s_or_b64 s[48:49], s[6:7], s[8:9]
.LBB2_5:                                ;   in Loop: Header=BB2_6 Depth=1
	s_or_b64 exec, exec, s[50:51]
	s_and_b64 s[6:7], exec, s[48:49]
	s_or_b64 s[46:47], s[6:7], s[46:47]
	s_andn2_b64 exec, exec, s[46:47]
	s_cbranch_execz .LBB2_210
.LBB2_6:                                ; =>This Loop Header: Depth=1
                                        ;     Child Loop BB2_11 Depth 2
                                        ;     Child Loop BB2_16 Depth 2
                                        ;       Child Loop BB2_18 Depth 3
                                        ;     Child Loop BB2_22 Depth 2
                                        ;     Child Loop BB2_64 Depth 2
	;; [unrolled: 1-line block ×4, first 2 shown]
                                        ;       Child Loop BB2_76 Depth 3
                                        ;     Child Loop BB2_81 Depth 2
                                        ;     Child Loop BB2_122 Depth 2
	;; [unrolled: 1-line block ×9, first 2 shown]
	v_cmp_gt_i32_e32 vcc, s62, v2
	s_or_b64 s[6:7], s[38:39], vcc
	s_or_b64 s[48:49], s[48:49], exec
	s_and_saveexec_b64 s[50:51], s[6:7]
	s_cbranch_execz .LBB2_5
; %bb.7:                                ;   in Loop: Header=BB2_6 Depth=1
	v_sub_u32_e32 v39, s22, v2
	v_cmp_gt_i32_e64 s[8:9], v39, v0
	v_cmp_le_i32_e32 vcc, v39, v0
	v_mul_lo_u32 v10, v2, s22
	s_and_saveexec_b64 s[6:7], vcc
	s_xor_b64 s[6:7], exec, s[6:7]
; %bb.8:                                ;   in Loop: Header=BB2_6 Depth=1
	v_mul_lo_u32 v10, v2, s22
; %bb.9:                                ;   in Loop: Header=BB2_6 Depth=1
	s_andn2_saveexec_b64 s[6:7], s[6:7]
	s_cbranch_execz .LBB2_13
; %bb.10:                               ;   in Loop: Header=BB2_6 Depth=1
	v_mad_u64_u32 v[8:9], s[10:11], s67, v2, v[0:1]
	v_mov_b32_e32 v9, v7
	v_lshlrev_b64 v[8:9], 2, v[8:9]
	v_mad_u64_u32 v[12:13], s[10:11], s65, v2, v[0:1]
	v_add_co_u32_e32 v8, vcc, s70, v8
	v_ashrrev_i32_e32 v13, 31, v12
	v_addc_co_u32_e32 v9, vcc, v30, v9, vcc
	v_lshlrev_b64 v[12:13], 2, v[12:13]
	v_add_co_u32_e32 v12, vcc, s72, v12
	v_addc_co_u32_e32 v13, vcc, v27, v13, vcc
	s_mov_b64 s[10:11], 0
	v_mov_b32_e32 v3, v0
.LBB2_11:                               ;   Parent Loop BB2_6 Depth=1
                                        ; =>  This Inner Loop Header: Depth=2
	global_load_dword v6, v[12:13], off
	v_add_u32_e32 v3, 0x100, v3
	v_cmp_ge_i32_e32 vcc, v3, v39
	s_or_b64 s[10:11], vcc, s[10:11]
	s_waitcnt vmcnt(0)
	global_store_dword v[8:9], v6, off
	v_add_co_u32_e32 v8, vcc, 0x400, v8
	v_addc_co_u32_e32 v9, vcc, 0, v9, vcc
	v_add_co_u32_e32 v12, vcc, 0x400, v12
	v_addc_co_u32_e32 v13, vcc, 0, v13, vcc
	s_andn2_b64 exec, exec, s[10:11]
	s_cbranch_execnz .LBB2_11
; %bb.12:                               ;   in Loop: Header=BB2_6 Depth=1
	s_or_b64 exec, exec, s[10:11]
.LBB2_13:                               ;   in Loop: Header=BB2_6 Depth=1
	s_or_b64 exec, exec, s[6:7]
	v_mov_b32_e32 v3, v7
	v_lshlrev_b64 v[8:9], 2, v[2:3]
	v_mov_b32_e32 v3, s25
	v_add_co_u32_e32 v16, vcc, s24, v8
	v_ashrrev_i32_e32 v11, 31, v10
	v_addc_co_u32_e32 v17, vcc, v3, v9, vcc
	v_lshlrev_b64 v[14:15], 2, v[10:11]
	v_add_co_u32_e32 v12, vcc, v16, v14
	v_addc_co_u32_e32 v13, vcc, v17, v15, vcc
	s_barrier
	s_and_saveexec_b64 s[12:13], s[8:9]
	s_cbranch_execz .LBB2_20
; %bb.14:                               ;   in Loop: Header=BB2_6 Depth=1
	v_add_co_u32_e32 v18, vcc, v28, v8
	v_cmp_ne_u32_e64 s[6:7], 0, v2
	v_addc_co_u32_e32 v19, vcc, v29, v9, vcc
	s_mov_b64 s[52:53], 0
	v_mov_b32_e32 v6, v0
	s_branch .LBB2_16
.LBB2_15:                               ;   in Loop: Header=BB2_16 Depth=2
	s_or_b64 exec, exec, s[54:55]
	v_lshlrev_b64 v[20:21], 2, v[6:7]
	v_add_co_u32_e32 v20, vcc, v12, v20
	v_addc_co_u32_e32 v21, vcc, v13, v21, vcc
	global_load_dword v11, v[20:21], off
	v_add_u32_e32 v6, 0x100, v6
	v_add_co_u32_e32 v18, vcc, 0x400, v18
	v_cmp_ge_i32_e64 s[10:11], v6, v39
	s_or_b64 s[52:53], s[10:11], s[52:53]
	v_addc_co_u32_e32 v19, vcc, 0, v19, vcc
	s_waitcnt vmcnt(0)
	v_sub_f32_e32 v3, v11, v3
	global_store_dword v[20:21], v3, off
	s_andn2_b64 exec, exec, s[52:53]
	s_cbranch_execz .LBB2_20
.LBB2_16:                               ;   Parent Loop BB2_6 Depth=1
                                        ; =>  This Loop Header: Depth=2
                                        ;       Child Loop BB2_18 Depth 3
	v_mov_b32_e32 v3, 0
	s_and_saveexec_b64 s[54:55], s[6:7]
	s_cbranch_execz .LBB2_15
; %bb.17:                               ;   in Loop: Header=BB2_16 Depth=2
	s_mov_b64 s[56:57], 0
	v_mov_b32_e32 v3, 0
	v_pk_mov_b32 v[20:21], v[18:19], v[18:19] op_sel:[0,1]
	v_pk_mov_b32 v[22:23], v[16:17], v[16:17] op_sel:[0,1]
	v_mov_b32_e32 v11, v2
.LBB2_18:                               ;   Parent Loop BB2_6 Depth=1
                                        ;     Parent Loop BB2_16 Depth=2
                                        ; =>    This Inner Loop Header: Depth=3
	global_load_dword v37, v[20:21], off
	global_load_dword v38, v[22:23], off
	v_mov_b32_e32 v41, s43
	v_add_co_u32_e32 v20, vcc, s42, v20
	v_add_u32_e32 v11, -1, v11
	v_addc_co_u32_e32 v21, vcc, v21, v41, vcc
	v_mov_b32_e32 v40, s41
	v_add_co_u32_e64 v22, s[10:11], s40, v22
	v_cmp_eq_u32_e32 vcc, 0, v11
	v_addc_co_u32_e64 v23, s[10:11], v23, v40, s[10:11]
	s_or_b64 s[56:57], vcc, s[56:57]
	s_waitcnt vmcnt(0)
	v_fmac_f32_e32 v3, v37, v38
	s_andn2_b64 exec, exec, s[56:57]
	s_cbranch_execnz .LBB2_18
; %bb.19:                               ;   in Loop: Header=BB2_16 Depth=2
	s_or_b64 exec, exec, s[56:57]
	s_branch .LBB2_15
.LBB2_20:                               ;   in Loop: Header=BB2_6 Depth=1
	s_or_b64 exec, exec, s[12:13]
	v_add_u32_e32 v37, -1, v39
	v_cmp_gt_i32_e64 s[6:7], v37, v0
	v_bfrev_b32_e32 v6, -2
	v_mov_b32_e32 v3, 0
	s_barrier
	s_and_saveexec_b64 s[12:13], s[6:7]
	s_cbranch_execz .LBB2_24
; %bb.21:                               ;   in Loop: Header=BB2_6 Depth=1
	v_add_co_u32_e32 v3, vcc, v14, v8
	v_addc_co_u32_e32 v6, vcc, v15, v9, vcc
	v_add_co_u32_e32 v14, vcc, v33, v3
	v_addc_co_u32_e32 v15, vcc, v34, v6, vcc
	s_mov_b64 s[52:53], 0
	v_bfrev_b32_e32 v6, -2
	v_mov_b32_e32 v3, 0
	v_mov_b32_e32 v11, v0
.LBB2_22:                               ;   Parent Loop BB2_6 Depth=1
                                        ; =>  This Inner Loop Header: Depth=2
	global_load_dword v18, v[14:15], off
	v_add_co_u32_e32 v14, vcc, 0x400, v14
	v_cmp_eq_u32_e64 s[10:11], s75, v6
	v_add_u32_e32 v19, 1, v11
	v_add_u32_e32 v11, 0x100, v11
	v_addc_co_u32_e32 v15, vcc, 0, v15, vcc
	v_cmp_ge_i32_e32 vcc, v11, v37
	s_waitcnt vmcnt(0)
	v_cmp_lt_f32_e64 s[54:55], v3, |v18|
	s_or_b64 s[10:11], s[54:55], s[10:11]
	v_cndmask_b32_e64 v3, v3, |v18|, s[10:11]
	s_or_b64 s[52:53], vcc, s[52:53]
	v_cndmask_b32_e64 v6, v6, v19, s[10:11]
	s_andn2_b64 exec, exec, s[52:53]
	s_cbranch_execnz .LBB2_22
; %bb.23:                               ;   in Loop: Header=BB2_6 Depth=1
	s_or_b64 exec, exec, s[52:53]
.LBB2_24:                               ;   in Loop: Header=BB2_6 Depth=1
	s_or_b64 exec, exec, s[12:13]
	v_cmp_lt_i32_e32 vcc, 2, v39
	ds_write_b32 v5, v3
	ds_write_b32 v24, v6
	s_waitcnt lgkmcnt(0)
	s_barrier
	s_and_saveexec_b64 s[52:53], vcc
	s_cbranch_execz .LBB2_58
; %bb.25:                               ;   in Loop: Header=BB2_6 Depth=1
	s_and_saveexec_b64 s[12:13], s[2:3]
	s_cbranch_execz .LBB2_31
; %bb.26:                               ;   in Loop: Header=BB2_6 Depth=1
	ds_read_b32 v11, v5 offset:512
	ds_read_b32 v14, v24 offset:512
	s_waitcnt lgkmcnt(1)
	v_cmp_lt_f32_e64 s[54:55], v3, v11
	v_cmp_nlt_f32_e32 vcc, v3, v11
	s_and_saveexec_b64 s[56:57], vcc
	s_cbranch_execz .LBB2_28
; %bb.27:                               ;   in Loop: Header=BB2_6 Depth=1
	v_cmp_eq_f32_e32 vcc, v3, v11
	s_waitcnt lgkmcnt(0)
	v_cmp_gt_i32_e64 s[10:11], v6, v14
	s_and_b64 s[10:11], vcc, s[10:11]
	s_andn2_b64 s[54:55], s[54:55], exec
	s_and_b64 s[10:11], s[10:11], exec
	s_or_b64 s[54:55], s[54:55], s[10:11]
.LBB2_28:                               ;   in Loop: Header=BB2_6 Depth=1
	s_or_b64 exec, exec, s[56:57]
	s_and_saveexec_b64 s[10:11], s[54:55]
	s_cbranch_execz .LBB2_30
; %bb.29:                               ;   in Loop: Header=BB2_6 Depth=1
	s_waitcnt lgkmcnt(0)
	v_mov_b32_e32 v6, v14
	v_mov_b32_e32 v3, v11
	ds_write_b32 v5, v11
	ds_write_b32 v24, v14
.LBB2_30:                               ;   in Loop: Header=BB2_6 Depth=1
	s_or_b64 exec, exec, s[10:11]
.LBB2_31:                               ;   in Loop: Header=BB2_6 Depth=1
	s_or_b64 exec, exec, s[12:13]
	s_waitcnt lgkmcnt(0)
	s_barrier
	s_and_b64 exec, exec, s[4:5]
	s_cbranch_execz .LBB2_58
; %bb.32:                               ;   in Loop: Header=BB2_6 Depth=1
	ds_read_b32 v11, v5 offset:256
	ds_read_b32 v14, v24 offset:256
	s_waitcnt lgkmcnt(1)
	v_cmp_lt_f32_e64 s[12:13], v3, v11
	v_cmp_nlt_f32_e32 vcc, v3, v11
	s_and_saveexec_b64 s[54:55], vcc
	s_cbranch_execz .LBB2_34
; %bb.33:                               ;   in Loop: Header=BB2_6 Depth=1
	v_cmp_eq_f32_e32 vcc, v3, v11
	s_waitcnt lgkmcnt(0)
	v_cmp_gt_i32_e64 s[10:11], v6, v14
	s_and_b64 s[10:11], vcc, s[10:11]
	s_andn2_b64 s[12:13], s[12:13], exec
	s_and_b64 s[10:11], s[10:11], exec
	s_or_b64 s[12:13], s[12:13], s[10:11]
.LBB2_34:                               ;   in Loop: Header=BB2_6 Depth=1
	s_or_b64 exec, exec, s[54:55]
	s_and_saveexec_b64 s[10:11], s[12:13]
	s_cbranch_execz .LBB2_36
; %bb.35:                               ;   in Loop: Header=BB2_6 Depth=1
	v_mov_b32_e32 v3, v11
	s_waitcnt lgkmcnt(0)
	v_mov_b32_e32 v6, v14
	ds_write_b32 v5, v11
	ds_write_b32 v24, v14
.LBB2_36:                               ;   in Loop: Header=BB2_6 Depth=1
	s_or_b64 exec, exec, s[10:11]
	ds_read_b32 v11, v5 offset:128
	s_waitcnt lgkmcnt(1)
	ds_read_b32 v14, v24 offset:128
	s_waitcnt lgkmcnt(1)
	v_cmp_lt_f32_e64 s[12:13], v3, v11
	v_cmp_nlt_f32_e32 vcc, v3, v11
	s_and_saveexec_b64 s[54:55], vcc
	s_cbranch_execz .LBB2_38
; %bb.37:                               ;   in Loop: Header=BB2_6 Depth=1
	v_cmp_eq_f32_e32 vcc, v3, v11
	s_waitcnt lgkmcnt(0)
	v_cmp_gt_i32_e64 s[10:11], v6, v14
	s_and_b64 s[10:11], vcc, s[10:11]
	s_andn2_b64 s[12:13], s[12:13], exec
	s_and_b64 s[10:11], s[10:11], exec
	s_or_b64 s[12:13], s[12:13], s[10:11]
.LBB2_38:                               ;   in Loop: Header=BB2_6 Depth=1
	s_or_b64 exec, exec, s[54:55]
	s_and_saveexec_b64 s[10:11], s[12:13]
	s_cbranch_execz .LBB2_40
; %bb.39:                               ;   in Loop: Header=BB2_6 Depth=1
	v_mov_b32_e32 v3, v11
	s_waitcnt lgkmcnt(0)
	v_mov_b32_e32 v6, v14
	ds_write_b32 v5, v11
	ds_write_b32 v24, v14
.LBB2_40:                               ;   in Loop: Header=BB2_6 Depth=1
	s_or_b64 exec, exec, s[10:11]
	ds_read_b32 v11, v5 offset:64
	s_waitcnt lgkmcnt(1)
	;; [unrolled: 28-line block ×6, first 2 shown]
	ds_read_b32 v14, v24 offset:4
	s_waitcnt lgkmcnt(1)
	v_cmp_eq_f32_e64 s[10:11], v3, v11
	s_waitcnt lgkmcnt(0)
	v_cmp_gt_i32_e64 s[12:13], v6, v14
	v_cmp_lt_f32_e32 vcc, v3, v11
	s_and_b64 s[10:11], s[10:11], s[12:13]
	s_or_b64 s[10:11], vcc, s[10:11]
	s_and_b64 exec, exec, s[10:11]
	s_cbranch_execz .LBB2_58
; %bb.57:                               ;   in Loop: Header=BB2_6 Depth=1
	ds_write_b32 v5, v11
	ds_write_b32 v24, v14
.LBB2_58:                               ;   in Loop: Header=BB2_6 Depth=1
	s_or_b64 exec, exec, s[52:53]
	s_and_saveexec_b64 s[10:11], s[0:1]
	s_cbranch_execz .LBB2_60
; %bb.59:                               ;   in Loop: Header=BB2_6 Depth=1
	global_load_dword v3, v[12:13], off
	ds_read2st64_b32 v[14:15], v7 offset1:4
	s_waitcnt lgkmcnt(0)
	v_add_u32_e32 v6, v14, v2
	ds_write_b32 v7, v6 offset:2048
	s_waitcnt vmcnt(0)
	v_and_b32_e32 v14, 0x7fffffff, v3
	ds_write_b64 v7, v[14:15] offset:2056
.LBB2_60:                               ;   in Loop: Header=BB2_6 Depth=1
	s_or_b64 exec, exec, s[10:11]
	s_waitcnt lgkmcnt(0)
	s_barrier
	ds_read_b64 v[14:15], v7 offset:2056
	v_add_u32_e32 v38, 1, v2
	s_waitcnt lgkmcnt(0)
	v_cmp_lt_f32_e32 vcc, v14, v15
	v_cndmask_b32_e32 v3, v14, v15, vcc
	v_cmp_neq_f32_e32 vcc, 0, v3
	s_cbranch_vccz .LBB2_78
; %bb.61:                               ;   in Loop: Header=BB2_6 Depth=1
	v_mul_f32_e32 v3, 0x3f23f07b, v15
	v_cmp_ge_f32_e32 vcc, v14, v3
	s_cbranch_vccnz .LBB2_169
; %bb.62:                               ;   in Loop: Header=BB2_6 Depth=1
	ds_read_b32 v3, v7 offset:2048
	s_waitcnt lgkmcnt(0)
	v_sub_u32_e32 v6, v3, v2
	v_cmp_gt_i32_e32 vcc, v6, v0
	s_and_saveexec_b64 s[10:11], vcc
	s_cbranch_execz .LBB2_65
; %bb.63:                               ;   in Loop: Header=BB2_6 Depth=1
	v_add_u32_e32 v18, v0, v2
	v_mad_u64_u32 v[14:15], s[12:13], v38, s22, v[18:19]
	v_ashrrev_i32_e32 v15, 31, v14
	v_lshlrev_b64 v[14:15], 2, v[14:15]
	v_mov_b32_e32 v11, s71
	v_add_co_u32_e32 v14, vcc, s70, v14
	v_addc_co_u32_e32 v15, vcc, v11, v15, vcc
	v_mul_lo_u32 v11, s21, v18
	v_add_u32_e32 v18, v3, v11
	s_mov_b64 s[12:13], 0
	v_mov_b32_e32 v11, v0
.LBB2_64:                               ;   Parent Loop BB2_6 Depth=1
                                        ; =>  This Inner Loop Header: Depth=2
	v_ashrrev_i32_e32 v19, 31, v18
	v_lshlrev_b64 v[20:21], 2, v[18:19]
	v_mov_b32_e32 v22, s33
	v_add_co_u32_e32 v20, vcc, s20, v20
	v_addc_co_u32_e32 v21, vcc, v22, v21, vcc
	global_load_dword v19, v[20:21], off
	v_add_u32_e32 v11, 0x100, v11
	v_cmp_ge_i32_e32 vcc, v11, v6
	s_or_b64 s[12:13], vcc, s[12:13]
	v_add_u32_e32 v18, s74, v18
	s_waitcnt vmcnt(0)
	global_store_dword v[14:15], v19, off
	v_add_co_u32_e32 v14, vcc, 0x400, v14
	v_addc_co_u32_e32 v15, vcc, 0, v15, vcc
	s_andn2_b64 exec, exec, s[12:13]
	s_cbranch_execnz .LBB2_64
.LBB2_65:                               ;   in Loop: Header=BB2_6 Depth=1
	s_or_b64 exec, exec, s[10:11]
	v_sub_u32_e32 v6, s22, v3
	v_cmp_le_i32_e32 vcc, v6, v0
                                        ; implicit-def: $vgpr14
	s_and_saveexec_b64 s[10:11], vcc
	s_xor_b64 s[10:11], exec, s[10:11]
; %bb.66:                               ;   in Loop: Header=BB2_6 Depth=1
	v_mul_lo_u32 v14, v38, s22
                                        ; implicit-def: $vgpr6
                                        ; implicit-def: $vgpr3
; %bb.67:                               ;   in Loop: Header=BB2_6 Depth=1
	s_andn2_saveexec_b64 s[10:11], s[10:11]
	s_cbranch_execz .LBB2_71
; %bb.68:                               ;   in Loop: Header=BB2_6 Depth=1
	v_mul_lo_u32 v14, v38, s22
	v_add3_u32 v18, v0, v3, v14
	v_ashrrev_i32_e32 v19, 31, v18
	v_mul_lo_u32 v3, s65, v3
	v_lshlrev_b64 v[18:19], 2, v[18:19]
	v_add_u32_e32 v20, v0, v3
	v_mov_b32_e32 v11, s71
	v_add_co_u32_e32 v18, vcc, s70, v18
	v_ashrrev_i32_e32 v21, 31, v20
	v_addc_co_u32_e32 v19, vcc, v11, v19, vcc
	v_lshlrev_b64 v[20:21], 2, v[20:21]
	v_mov_b32_e32 v3, s73
	v_add_co_u32_e32 v20, vcc, s72, v20
	v_addc_co_u32_e32 v21, vcc, v3, v21, vcc
	s_mov_b64 s[12:13], 0
	v_mov_b32_e32 v3, v0
.LBB2_69:                               ;   Parent Loop BB2_6 Depth=1
                                        ; =>  This Inner Loop Header: Depth=2
	global_load_dword v11, v[20:21], off
	v_add_u32_e32 v3, 0x100, v3
	v_cmp_ge_i32_e32 vcc, v3, v6
	s_or_b64 s[12:13], vcc, s[12:13]
	s_waitcnt vmcnt(0)
	global_store_dword v[18:19], v11, off
	v_add_co_u32_e32 v18, vcc, 0x400, v18
	v_addc_co_u32_e32 v19, vcc, 0, v19, vcc
	v_add_co_u32_e32 v20, vcc, 0x400, v20
	v_addc_co_u32_e32 v21, vcc, 0, v21, vcc
	s_andn2_b64 exec, exec, s[12:13]
	s_cbranch_execnz .LBB2_69
; %bb.70:                               ;   in Loop: Header=BB2_6 Depth=1
	s_or_b64 exec, exec, s[12:13]
.LBB2_71:                               ;   in Loop: Header=BB2_6 Depth=1
	s_or_b64 exec, exec, s[10:11]
	v_ashrrev_i32_e32 v15, 31, v14
	s_barrier
	s_and_saveexec_b64 s[52:53], s[8:9]
	s_cbranch_execz .LBB2_79
; %bb.72:                               ;   in Loop: Header=BB2_6 Depth=1
	ds_read_b32 v18, v7 offset:2048
	v_mov_b32_e32 v3, s25
	v_lshlrev_b64 v[20:21], 2, v[14:15]
	v_cmp_ne_u32_e64 s[10:11], 0, v2
	s_mov_b64 s[54:55], 0
	s_waitcnt lgkmcnt(0)
	v_ashrrev_i32_e32 v19, 31, v18
	v_lshlrev_b64 v[18:19], 2, v[18:19]
	v_add_co_u32_e32 v18, vcc, s24, v18
	v_addc_co_u32_e32 v19, vcc, v3, v19, vcc
	v_add_co_u32_e32 v3, vcc, v16, v20
	v_addc_co_u32_e32 v11, vcc, v17, v21, vcc
	;; [unrolled: 2-line block ×3, first 2 shown]
	v_mov_b32_e32 v6, v0
	s_branch .LBB2_74
.LBB2_73:                               ;   in Loop: Header=BB2_74 Depth=2
	s_or_b64 exec, exec, s[56:57]
	v_lshlrev_b64 v[20:21], 2, v[6:7]
	v_add_co_u32_e32 v20, vcc, v3, v20
	v_addc_co_u32_e32 v21, vcc, v11, v21, vcc
	global_load_dword v22, v[20:21], off
	v_add_u32_e32 v6, 0x100, v6
	v_add_co_u32_e32 v16, vcc, 0x400, v16
	v_cmp_ge_i32_e64 s[12:13], v6, v39
	s_or_b64 s[54:55], s[12:13], s[54:55]
	v_addc_co_u32_e32 v17, vcc, 0, v17, vcc
	s_waitcnt vmcnt(0)
	v_sub_f32_e32 v22, v22, v40
	global_store_dword v[20:21], v22, off
	s_andn2_b64 exec, exec, s[54:55]
	s_cbranch_execz .LBB2_79
.LBB2_74:                               ;   Parent Loop BB2_6 Depth=1
                                        ; =>  This Loop Header: Depth=2
                                        ;       Child Loop BB2_76 Depth 3
	v_mov_b32_e32 v40, 0
	s_and_saveexec_b64 s[56:57], s[10:11]
	s_cbranch_execz .LBB2_73
; %bb.75:                               ;   in Loop: Header=BB2_74 Depth=2
	s_mov_b64 s[58:59], 0
	v_mov_b32_e32 v40, 0
	v_pk_mov_b32 v[20:21], v[16:17], v[16:17] op_sel:[0,1]
	v_pk_mov_b32 v[22:23], v[18:19], v[18:19] op_sel:[0,1]
	v_mov_b32_e32 v41, v2
.LBB2_76:                               ;   Parent Loop BB2_6 Depth=1
                                        ;     Parent Loop BB2_74 Depth=2
                                        ; =>    This Inner Loop Header: Depth=3
	global_load_dword v42, v[20:21], off
	global_load_dword v43, v[22:23], off
	v_mov_b32_e32 v45, s43
	v_add_co_u32_e32 v20, vcc, s42, v20
	v_add_u32_e32 v41, -1, v41
	v_addc_co_u32_e32 v21, vcc, v21, v45, vcc
	v_mov_b32_e32 v44, s41
	v_add_co_u32_e64 v22, s[12:13], s40, v22
	v_cmp_eq_u32_e32 vcc, 0, v41
	v_addc_co_u32_e64 v23, s[12:13], v23, v44, s[12:13]
	s_or_b64 s[58:59], vcc, s[58:59]
	s_waitcnt vmcnt(0)
	v_fmac_f32_e32 v40, v42, v43
	s_andn2_b64 exec, exec, s[58:59]
	s_cbranch_execnz .LBB2_76
; %bb.77:                               ;   in Loop: Header=BB2_74 Depth=2
	s_or_b64 exec, exec, s[58:59]
	s_branch .LBB2_73
.LBB2_78:                               ;   in Loop: Header=BB2_6 Depth=1
                                        ; implicit-def: $sgpr8_sgpr9
                                        ; implicit-def: $vgpr6
                                        ; implicit-def: $vgpr3
	s_cbranch_execnz .LBB2_202
	s_branch .LBB2_205
.LBB2_79:                               ;   in Loop: Header=BB2_6 Depth=1
	s_or_b64 exec, exec, s[52:53]
	s_barrier
	ds_read_b32 v3, v7 offset:2048
	v_bfrev_b32_e32 v6, -2
	s_waitcnt lgkmcnt(0)
	v_sub_u32_e32 v11, v3, v2
	v_cmp_gt_i32_e32 vcc, v11, v0
	v_mov_b32_e32 v3, 0
	s_and_saveexec_b64 s[12:13], vcc
	s_cbranch_execz .LBB2_83
; %bb.80:                               ;   in Loop: Header=BB2_6 Depth=1
	v_lshlrev_b64 v[16:17], 2, v[14:15]
	v_add_co_u32_e32 v3, vcc, v16, v8
	v_addc_co_u32_e32 v6, vcc, v17, v9, vcc
	v_add_co_u32_e32 v16, vcc, v31, v3
	v_addc_co_u32_e32 v17, vcc, v32, v6, vcc
	s_mov_b64 s[52:53], 0
	v_bfrev_b32_e32 v6, -2
	v_mov_b32_e32 v3, 0
	v_mov_b32_e32 v18, v0
.LBB2_81:                               ;   Parent Loop BB2_6 Depth=1
                                        ; =>  This Inner Loop Header: Depth=2
	global_load_dword v19, v[16:17], off
	v_add_co_u32_e32 v16, vcc, 0x400, v16
	v_cmp_eq_u32_e64 s[10:11], s75, v6
	v_add_u32_e32 v20, 1, v18
	v_add_u32_e32 v18, 0x100, v18
	v_addc_co_u32_e32 v17, vcc, 0, v17, vcc
	v_cmp_ge_i32_e32 vcc, v18, v11
	s_waitcnt vmcnt(0)
	v_cmp_lt_f32_e64 s[54:55], v3, |v19|
	s_or_b64 s[10:11], s[54:55], s[10:11]
	v_cndmask_b32_e64 v3, v3, |v19|, s[10:11]
	s_or_b64 s[52:53], vcc, s[52:53]
	v_cndmask_b32_e64 v6, v6, v20, s[10:11]
	s_andn2_b64 exec, exec, s[52:53]
	s_cbranch_execnz .LBB2_81
; %bb.82:                               ;   in Loop: Header=BB2_6 Depth=1
	s_or_b64 exec, exec, s[52:53]
.LBB2_83:                               ;   in Loop: Header=BB2_6 Depth=1
	s_or_b64 exec, exec, s[12:13]
	v_cmp_lt_i32_e32 vcc, 1, v11
	ds_write_b32 v5, v3
	ds_write_b32 v24, v6
	s_waitcnt lgkmcnt(0)
	s_barrier
	s_and_saveexec_b64 s[52:53], vcc
	s_cbranch_execz .LBB2_117
; %bb.84:                               ;   in Loop: Header=BB2_6 Depth=1
	s_and_saveexec_b64 s[12:13], s[2:3]
	s_cbranch_execz .LBB2_90
; %bb.85:                               ;   in Loop: Header=BB2_6 Depth=1
	ds_read_b32 v11, v5 offset:512
	ds_read_b32 v16, v24 offset:512
	s_waitcnt lgkmcnt(1)
	v_cmp_lt_f32_e64 s[54:55], v3, v11
	v_cmp_nlt_f32_e32 vcc, v3, v11
	s_and_saveexec_b64 s[56:57], vcc
	s_cbranch_execz .LBB2_87
; %bb.86:                               ;   in Loop: Header=BB2_6 Depth=1
	v_cmp_eq_f32_e32 vcc, v3, v11
	s_waitcnt lgkmcnt(0)
	v_cmp_gt_i32_e64 s[10:11], v6, v16
	s_and_b64 s[10:11], vcc, s[10:11]
	s_andn2_b64 s[54:55], s[54:55], exec
	s_and_b64 s[10:11], s[10:11], exec
	s_or_b64 s[54:55], s[54:55], s[10:11]
.LBB2_87:                               ;   in Loop: Header=BB2_6 Depth=1
	s_or_b64 exec, exec, s[56:57]
	s_and_saveexec_b64 s[10:11], s[54:55]
	s_cbranch_execz .LBB2_89
; %bb.88:                               ;   in Loop: Header=BB2_6 Depth=1
	s_waitcnt lgkmcnt(0)
	v_mov_b32_e32 v6, v16
	v_mov_b32_e32 v3, v11
	ds_write_b32 v5, v11
	ds_write_b32 v24, v16
.LBB2_89:                               ;   in Loop: Header=BB2_6 Depth=1
	s_or_b64 exec, exec, s[10:11]
.LBB2_90:                               ;   in Loop: Header=BB2_6 Depth=1
	s_or_b64 exec, exec, s[12:13]
	s_waitcnt lgkmcnt(0)
	s_barrier
	s_and_b64 exec, exec, s[4:5]
	s_cbranch_execz .LBB2_117
; %bb.91:                               ;   in Loop: Header=BB2_6 Depth=1
	ds_read_b32 v11, v5 offset:256
	ds_read_b32 v16, v24 offset:256
	s_waitcnt lgkmcnt(1)
	v_cmp_lt_f32_e64 s[12:13], v3, v11
	v_cmp_nlt_f32_e32 vcc, v3, v11
	s_and_saveexec_b64 s[54:55], vcc
	s_cbranch_execz .LBB2_93
; %bb.92:                               ;   in Loop: Header=BB2_6 Depth=1
	v_cmp_eq_f32_e32 vcc, v3, v11
	s_waitcnt lgkmcnt(0)
	v_cmp_gt_i32_e64 s[10:11], v6, v16
	s_and_b64 s[10:11], vcc, s[10:11]
	s_andn2_b64 s[12:13], s[12:13], exec
	s_and_b64 s[10:11], s[10:11], exec
	s_or_b64 s[12:13], s[12:13], s[10:11]
.LBB2_93:                               ;   in Loop: Header=BB2_6 Depth=1
	s_or_b64 exec, exec, s[54:55]
	s_and_saveexec_b64 s[10:11], s[12:13]
	s_cbranch_execz .LBB2_95
; %bb.94:                               ;   in Loop: Header=BB2_6 Depth=1
	v_mov_b32_e32 v3, v11
	s_waitcnt lgkmcnt(0)
	v_mov_b32_e32 v6, v16
	ds_write_b32 v5, v11
	ds_write_b32 v24, v16
.LBB2_95:                               ;   in Loop: Header=BB2_6 Depth=1
	s_or_b64 exec, exec, s[10:11]
	ds_read_b32 v11, v5 offset:128
	s_waitcnt lgkmcnt(1)
	ds_read_b32 v16, v24 offset:128
	s_waitcnt lgkmcnt(1)
	v_cmp_lt_f32_e64 s[12:13], v3, v11
	v_cmp_nlt_f32_e32 vcc, v3, v11
	s_and_saveexec_b64 s[54:55], vcc
	s_cbranch_execz .LBB2_97
; %bb.96:                               ;   in Loop: Header=BB2_6 Depth=1
	v_cmp_eq_f32_e32 vcc, v3, v11
	s_waitcnt lgkmcnt(0)
	v_cmp_gt_i32_e64 s[10:11], v6, v16
	s_and_b64 s[10:11], vcc, s[10:11]
	s_andn2_b64 s[12:13], s[12:13], exec
	s_and_b64 s[10:11], s[10:11], exec
	s_or_b64 s[12:13], s[12:13], s[10:11]
.LBB2_97:                               ;   in Loop: Header=BB2_6 Depth=1
	s_or_b64 exec, exec, s[54:55]
	s_and_saveexec_b64 s[10:11], s[12:13]
	s_cbranch_execz .LBB2_99
; %bb.98:                               ;   in Loop: Header=BB2_6 Depth=1
	v_mov_b32_e32 v3, v11
	s_waitcnt lgkmcnt(0)
	v_mov_b32_e32 v6, v16
	ds_write_b32 v5, v11
	ds_write_b32 v24, v16
.LBB2_99:                               ;   in Loop: Header=BB2_6 Depth=1
	s_or_b64 exec, exec, s[10:11]
	ds_read_b32 v11, v5 offset:64
	s_waitcnt lgkmcnt(1)
	ds_read_b32 v16, v24 offset:64
	s_waitcnt lgkmcnt(1)
	v_cmp_lt_f32_e64 s[12:13], v3, v11
	v_cmp_nlt_f32_e32 vcc, v3, v11
	s_and_saveexec_b64 s[54:55], vcc
	s_cbranch_execz .LBB2_101
; %bb.100:                              ;   in Loop: Header=BB2_6 Depth=1
	v_cmp_eq_f32_e32 vcc, v3, v11
	s_waitcnt lgkmcnt(0)
	v_cmp_gt_i32_e64 s[10:11], v6, v16
	s_and_b64 s[10:11], vcc, s[10:11]
	s_andn2_b64 s[12:13], s[12:13], exec
	s_and_b64 s[10:11], s[10:11], exec
	s_or_b64 s[12:13], s[12:13], s[10:11]
.LBB2_101:                              ;   in Loop: Header=BB2_6 Depth=1
	s_or_b64 exec, exec, s[54:55]
	s_and_saveexec_b64 s[10:11], s[12:13]
	s_cbranch_execz .LBB2_103
; %bb.102:                              ;   in Loop: Header=BB2_6 Depth=1
	v_mov_b32_e32 v3, v11
	s_waitcnt lgkmcnt(0)
	v_mov_b32_e32 v6, v16
	ds_write_b32 v5, v11
	ds_write_b32 v24, v16
.LBB2_103:                              ;   in Loop: Header=BB2_6 Depth=1
	s_or_b64 exec, exec, s[10:11]
	ds_read_b32 v11, v5 offset:32
	s_waitcnt lgkmcnt(1)
	ds_read_b32 v16, v24 offset:32
	s_waitcnt lgkmcnt(1)
	v_cmp_lt_f32_e64 s[12:13], v3, v11
	v_cmp_nlt_f32_e32 vcc, v3, v11
	s_and_saveexec_b64 s[54:55], vcc
	s_cbranch_execz .LBB2_105
; %bb.104:                              ;   in Loop: Header=BB2_6 Depth=1
	v_cmp_eq_f32_e32 vcc, v3, v11
	s_waitcnt lgkmcnt(0)
	v_cmp_gt_i32_e64 s[10:11], v6, v16
	s_and_b64 s[10:11], vcc, s[10:11]
	s_andn2_b64 s[12:13], s[12:13], exec
	s_and_b64 s[10:11], s[10:11], exec
	s_or_b64 s[12:13], s[12:13], s[10:11]
.LBB2_105:                              ;   in Loop: Header=BB2_6 Depth=1
	s_or_b64 exec, exec, s[54:55]
	s_and_saveexec_b64 s[10:11], s[12:13]
	s_cbranch_execz .LBB2_107
; %bb.106:                              ;   in Loop: Header=BB2_6 Depth=1
	v_mov_b32_e32 v3, v11
	s_waitcnt lgkmcnt(0)
	v_mov_b32_e32 v6, v16
	ds_write_b32 v5, v11
	ds_write_b32 v24, v16
.LBB2_107:                              ;   in Loop: Header=BB2_6 Depth=1
	;; [unrolled: 28-line block ×4, first 2 shown]
	s_or_b64 exec, exec, s[10:11]
	ds_read_b32 v11, v5 offset:4
	s_waitcnt lgkmcnt(1)
	ds_read_b32 v16, v24 offset:4
	s_waitcnt lgkmcnt(1)
	v_cmp_eq_f32_e64 s[10:11], v3, v11
	s_waitcnt lgkmcnt(0)
	v_cmp_gt_i32_e64 s[12:13], v6, v16
	v_cmp_lt_f32_e32 vcc, v3, v11
	s_and_b64 s[10:11], s[10:11], s[12:13]
	s_or_b64 s[10:11], vcc, s[10:11]
	s_and_b64 exec, exec, s[10:11]
	s_cbranch_execz .LBB2_117
; %bb.116:                              ;   in Loop: Header=BB2_6 Depth=1
	ds_write_b32 v5, v11
	ds_write_b32 v24, v16
.LBB2_117:                              ;   in Loop: Header=BB2_6 Depth=1
	s_or_b64 exec, exec, s[52:53]
	s_and_saveexec_b64 s[10:11], s[0:1]
	s_cbranch_execz .LBB2_119
; %bb.118:                              ;   in Loop: Header=BB2_6 Depth=1
	ds_read_b32 v3, v7 offset:1024
	s_waitcnt lgkmcnt(0)
	ds_write_b32 v7, v3 offset:2064
.LBB2_119:                              ;   in Loop: Header=BB2_6 Depth=1
	s_or_b64 exec, exec, s[10:11]
	ds_read_b32 v3, v7 offset:2048
	s_waitcnt lgkmcnt(0)
	v_cmp_le_i32_e32 vcc, s64, v3
	v_readfirstlane_b32 s10, v3
	s_cbranch_vccnz .LBB2_162
; %bb.120:                              ;   in Loop: Header=BB2_6 Depth=1
	s_not_b32 s54, s10
	s_add_i32 s54, s54, s22
	v_cmp_gt_i32_e32 vcc, s54, v0
	v_bfrev_b32_e32 v6, -2
	v_mov_b32_e32 v3, 0
	s_and_saveexec_b64 s[12:13], vcc
	s_cbranch_execz .LBB2_124
; %bb.121:                              ;   in Loop: Header=BB2_6 Depth=1
	s_ashr_i32 s11, s10, 31
	v_lshlrev_b64 v[16:17], 2, v[14:15]
	s_lshl_b64 s[10:11], s[10:11], 2
	v_mov_b32_e32 v3, s11
	v_add_co_u32_e32 v6, vcc, s10, v16
	v_addc_co_u32_e32 v3, vcc, v17, v3, vcc
	v_add_co_u32_e32 v16, vcc, v33, v6
	v_addc_co_u32_e32 v17, vcc, v34, v3, vcc
	s_mov_b64 s[52:53], 0
	v_bfrev_b32_e32 v6, -2
	v_mov_b32_e32 v3, 0
	v_mov_b32_e32 v11, v0
.LBB2_122:                              ;   Parent Loop BB2_6 Depth=1
                                        ; =>  This Inner Loop Header: Depth=2
	global_load_dword v15, v[16:17], off
	v_add_co_u32_e32 v16, vcc, 0x400, v16
	v_cmp_eq_u32_e64 s[10:11], s75, v6
	v_add_u32_e32 v18, 1, v11
	v_add_u32_e32 v11, 0x100, v11
	v_addc_co_u32_e32 v17, vcc, 0, v17, vcc
	v_cmp_le_i32_e32 vcc, s54, v11
	s_waitcnt vmcnt(0)
	v_cmp_lt_f32_e64 s[56:57], v3, |v15|
	s_or_b64 s[10:11], s[56:57], s[10:11]
	v_cndmask_b32_e64 v3, v3, |v15|, s[10:11]
	s_or_b64 s[52:53], vcc, s[52:53]
	v_cndmask_b32_e64 v6, v6, v18, s[10:11]
	s_andn2_b64 exec, exec, s[52:53]
	s_cbranch_execnz .LBB2_122
; %bb.123:                              ;   in Loop: Header=BB2_6 Depth=1
	s_or_b64 exec, exec, s[52:53]
.LBB2_124:                              ;   in Loop: Header=BB2_6 Depth=1
	s_or_b64 exec, exec, s[12:13]
	s_cmp_lt_i32 s54, 2
	ds_write_b32 v5, v3
	ds_write_b32 v24, v6
	s_waitcnt lgkmcnt(0)
	s_barrier
	s_cbranch_scc1 .LBB2_159
; %bb.125:                              ;   in Loop: Header=BB2_6 Depth=1
	s_and_saveexec_b64 s[12:13], s[2:3]
	s_cbranch_execz .LBB2_131
; %bb.126:                              ;   in Loop: Header=BB2_6 Depth=1
	ds_read_b32 v11, v5 offset:512
	ds_read_b32 v15, v24 offset:512
	s_waitcnt lgkmcnt(1)
	v_cmp_lt_f32_e64 s[52:53], v3, v11
	v_cmp_nlt_f32_e32 vcc, v3, v11
	s_and_saveexec_b64 s[54:55], vcc
	s_cbranch_execz .LBB2_128
; %bb.127:                              ;   in Loop: Header=BB2_6 Depth=1
	v_cmp_eq_f32_e32 vcc, v3, v11
	s_waitcnt lgkmcnt(0)
	v_cmp_gt_i32_e64 s[10:11], v6, v15
	s_and_b64 s[10:11], vcc, s[10:11]
	s_andn2_b64 s[52:53], s[52:53], exec
	s_and_b64 s[10:11], s[10:11], exec
	s_or_b64 s[52:53], s[52:53], s[10:11]
.LBB2_128:                              ;   in Loop: Header=BB2_6 Depth=1
	s_or_b64 exec, exec, s[54:55]
	s_and_saveexec_b64 s[10:11], s[52:53]
	s_cbranch_execz .LBB2_130
; %bb.129:                              ;   in Loop: Header=BB2_6 Depth=1
	s_waitcnt lgkmcnt(0)
	v_mov_b32_e32 v6, v15
	v_mov_b32_e32 v3, v11
	ds_write_b32 v5, v11
	ds_write_b32 v24, v15
.LBB2_130:                              ;   in Loop: Header=BB2_6 Depth=1
	s_or_b64 exec, exec, s[10:11]
.LBB2_131:                              ;   in Loop: Header=BB2_6 Depth=1
	s_or_b64 exec, exec, s[12:13]
	s_waitcnt lgkmcnt(0)
	s_barrier
	s_and_saveexec_b64 s[52:53], s[4:5]
	s_cbranch_execz .LBB2_158
; %bb.132:                              ;   in Loop: Header=BB2_6 Depth=1
	ds_read_b32 v11, v5 offset:256
	ds_read_b32 v15, v24 offset:256
	s_waitcnt lgkmcnt(1)
	v_cmp_lt_f32_e64 s[12:13], v3, v11
	v_cmp_nlt_f32_e32 vcc, v3, v11
	s_and_saveexec_b64 s[54:55], vcc
	s_cbranch_execz .LBB2_134
; %bb.133:                              ;   in Loop: Header=BB2_6 Depth=1
	v_cmp_eq_f32_e32 vcc, v3, v11
	s_waitcnt lgkmcnt(0)
	v_cmp_gt_i32_e64 s[10:11], v6, v15
	s_and_b64 s[10:11], vcc, s[10:11]
	s_andn2_b64 s[12:13], s[12:13], exec
	s_and_b64 s[10:11], s[10:11], exec
	s_or_b64 s[12:13], s[12:13], s[10:11]
.LBB2_134:                              ;   in Loop: Header=BB2_6 Depth=1
	s_or_b64 exec, exec, s[54:55]
	s_and_saveexec_b64 s[10:11], s[12:13]
	s_cbranch_execz .LBB2_136
; %bb.135:                              ;   in Loop: Header=BB2_6 Depth=1
	v_mov_b32_e32 v3, v11
	s_waitcnt lgkmcnt(0)
	v_mov_b32_e32 v6, v15
	ds_write_b32 v5, v11
	ds_write_b32 v24, v15
.LBB2_136:                              ;   in Loop: Header=BB2_6 Depth=1
	s_or_b64 exec, exec, s[10:11]
	ds_read_b32 v11, v5 offset:128
	s_waitcnt lgkmcnt(1)
	ds_read_b32 v15, v24 offset:128
	s_waitcnt lgkmcnt(1)
	v_cmp_lt_f32_e64 s[12:13], v3, v11
	v_cmp_nlt_f32_e32 vcc, v3, v11
	s_and_saveexec_b64 s[54:55], vcc
	s_cbranch_execz .LBB2_138
; %bb.137:                              ;   in Loop: Header=BB2_6 Depth=1
	v_cmp_eq_f32_e32 vcc, v3, v11
	s_waitcnt lgkmcnt(0)
	v_cmp_gt_i32_e64 s[10:11], v6, v15
	s_and_b64 s[10:11], vcc, s[10:11]
	s_andn2_b64 s[12:13], s[12:13], exec
	s_and_b64 s[10:11], s[10:11], exec
	s_or_b64 s[12:13], s[12:13], s[10:11]
.LBB2_138:                              ;   in Loop: Header=BB2_6 Depth=1
	s_or_b64 exec, exec, s[54:55]
	s_and_saveexec_b64 s[10:11], s[12:13]
	s_cbranch_execz .LBB2_140
; %bb.139:                              ;   in Loop: Header=BB2_6 Depth=1
	v_mov_b32_e32 v3, v11
	s_waitcnt lgkmcnt(0)
	v_mov_b32_e32 v6, v15
	ds_write_b32 v5, v11
	ds_write_b32 v24, v15
.LBB2_140:                              ;   in Loop: Header=BB2_6 Depth=1
	s_or_b64 exec, exec, s[10:11]
	ds_read_b32 v11, v5 offset:64
	s_waitcnt lgkmcnt(1)
	;; [unrolled: 28-line block ×6, first 2 shown]
	ds_read_b32 v15, v24 offset:4
	s_waitcnt lgkmcnt(1)
	v_cmp_eq_f32_e64 s[10:11], v3, v11
	s_waitcnt lgkmcnt(0)
	v_cmp_gt_i32_e64 s[12:13], v6, v15
	v_cmp_lt_f32_e32 vcc, v3, v11
	s_and_b64 s[10:11], s[10:11], s[12:13]
	s_or_b64 s[10:11], vcc, s[10:11]
	s_and_b64 exec, exec, s[10:11]
	s_cbranch_execz .LBB2_158
; %bb.157:                              ;   in Loop: Header=BB2_6 Depth=1
	ds_write_b32 v5, v11
	ds_write_b32 v24, v15
.LBB2_158:                              ;   in Loop: Header=BB2_6 Depth=1
	s_or_b64 exec, exec, s[52:53]
.LBB2_159:                              ;   in Loop: Header=BB2_6 Depth=1
	s_and_saveexec_b64 s[10:11], s[0:1]
	s_cbranch_execz .LBB2_161
; %bb.160:                              ;   in Loop: Header=BB2_6 Depth=1
	ds_read_b32 v3, v7 offset:2064
	ds_read_b32 v6, v7 offset:1024
	s_waitcnt lgkmcnt(0)
	v_cmp_lt_f32_e32 vcc, v3, v6
	v_cndmask_b32_e32 v3, v3, v6, vcc
	ds_write_b32 v7, v3 offset:2064
.LBB2_161:                              ;   in Loop: Header=BB2_6 Depth=1
	s_or_b64 exec, exec, s[10:11]
.LBB2_162:                              ;   in Loop: Header=BB2_6 Depth=1
	s_waitcnt lgkmcnt(0)
	s_barrier
	ds_read_b64 v[16:17], v7 offset:2056
	ds_read_b32 v3, v7 offset:2064
	s_waitcnt lgkmcnt(1)
	v_mul_f32_e32 v15, 0x3f23f07b, v17
	s_waitcnt lgkmcnt(0)
	v_div_scale_f32 v6, s[10:11], v3, v3, v17
	v_rcp_f32_e32 v11, v6
	v_fma_f32 v18, -v6, v11, 1.0
	v_fmac_f32_e32 v11, v18, v11
	v_div_scale_f32 v18, vcc, v17, v3, v17
	v_mul_f32_e32 v19, v18, v11
	v_fma_f32 v20, -v6, v19, v18
	v_fmac_f32_e32 v19, v20, v11
	v_fma_f32 v6, -v6, v19, v18
	v_div_fmas_f32 v6, v6, v11, v19
	v_div_fixup_f32 v6, v6, v3, v17
	v_mul_f32_e32 v6, v15, v6
	v_cmp_ge_f32_e32 vcc, v16, v6
	s_cbranch_vccnz .LBB2_169
; %bb.163:                              ;   in Loop: Header=BB2_6 Depth=1
	ds_read_b32 v6, v7 offset:2048
	v_mov_b32_e32 v11, s25
	v_mul_f32_e32 v3, 0x3f23f07b, v3
	s_mov_b64 s[10:11], 0
	s_waitcnt lgkmcnt(0)
	v_add_u32_e32 v16, v6, v14
	v_ashrrev_i32_e32 v17, 31, v16
	v_lshlrev_b64 v[16:17], 2, v[16:17]
	v_add_co_u32_e32 v16, vcc, s24, v16
	v_addc_co_u32_e32 v17, vcc, v11, v17, vcc
	global_load_dword v11, v[16:17], off
	s_waitcnt vmcnt(0)
	v_cmp_ge_f32_e64 s[52:53], |v11|, v3
	v_mov_b32_e32 v11, 2
	s_and_saveexec_b64 s[12:13], s[52:53]
	s_cbranch_execz .LBB2_168
; %bb.164:                              ;   in Loop: Header=BB2_6 Depth=1
	s_and_saveexec_b64 s[10:11], s[8:9]
	s_cbranch_execz .LBB2_167
; %bb.165:                              ;   in Loop: Header=BB2_6 Depth=1
	v_add3_u32 v16, v0, v10, v2
	v_ashrrev_i32_e32 v17, 31, v16
	v_lshlrev_b64 v[16:17], 2, v[16:17]
	v_add3_u32 v14, v0, v14, v2
	v_mov_b32_e32 v3, s71
	v_add_co_u32_e32 v16, vcc, s70, v16
	v_ashrrev_i32_e32 v15, 31, v14
	v_addc_co_u32_e32 v17, vcc, v3, v17, vcc
	v_lshlrev_b64 v[14:15], 2, v[14:15]
	v_add_co_u32_e32 v14, vcc, s70, v14
	v_addc_co_u32_e32 v15, vcc, v3, v15, vcc
	s_mov_b64 s[8:9], 0
	v_mov_b32_e32 v3, v0
.LBB2_166:                              ;   Parent Loop BB2_6 Depth=1
                                        ; =>  This Inner Loop Header: Depth=2
	global_load_dword v11, v[14:15], off
	v_add_u32_e32 v3, 0x100, v3
	v_cmp_ge_i32_e32 vcc, v3, v39
	s_or_b64 s[8:9], vcc, s[8:9]
	s_waitcnt vmcnt(0)
	global_store_dword v[16:17], v11, off
	v_add_co_u32_e32 v16, vcc, 0x400, v16
	v_addc_co_u32_e32 v17, vcc, 0, v17, vcc
	v_add_co_u32_e32 v14, vcc, 0x400, v14
	v_addc_co_u32_e32 v15, vcc, 0, v15, vcc
	s_andn2_b64 exec, exec, s[8:9]
	s_cbranch_execnz .LBB2_166
.LBB2_167:                              ;   in Loop: Header=BB2_6 Depth=1
	s_or_b64 exec, exec, s[10:11]
	s_mov_b64 s[10:11], exec
	v_mov_b32_e32 v11, 1
	s_barrier
.LBB2_168:                              ;   in Loop: Header=BB2_6 Depth=1
	s_or_b64 exec, exec, s[12:13]
	s_branch .LBB2_170
.LBB2_169:                              ;   in Loop: Header=BB2_6 Depth=1
	s_mov_b64 s[10:11], -1
	v_mov_b32_e32 v11, 1
	v_mov_b32_e32 v6, v2
.LBB2_170:                              ;   in Loop: Header=BB2_6 Depth=1
	v_add_u32_e32 v14, v11, v2
	v_add_u32_e32 v3, -1, v14
	v_cmp_ne_u32_e32 vcc, v6, v3
	s_and_saveexec_b64 s[12:13], vcc
	s_cbranch_execz .LBB2_186
; %bb.171:                              ;   in Loop: Header=BB2_6 Depth=1
	s_and_saveexec_b64 s[8:9], s[0:1]
	s_cbranch_execz .LBB2_173
; %bb.172:                              ;   in Loop: Header=BB2_6 Depth=1
	v_mul_lo_u32 v16, v3, s65
	v_ashrrev_i32_e32 v17, 31, v16
	v_lshlrev_b64 v[16:17], 2, v[16:17]
	v_mov_b32_e32 v15, s33
	v_add_co_u32_e32 v16, vcc, s20, v16
	v_addc_co_u32_e32 v17, vcc, v15, v17, vcc
	global_load_dword v18, v[16:17], off
	v_mul_lo_u32 v16, v6, s65
	v_ashrrev_i32_e32 v17, 31, v16
	v_lshlrev_b64 v[16:17], 2, v[16:17]
	v_add_co_u32_e32 v16, vcc, s20, v16
	v_addc_co_u32_e32 v17, vcc, v15, v17, vcc
	s_waitcnt vmcnt(0)
	global_store_dword v[16:17], v18, off
.LBB2_173:                              ;   in Loop: Header=BB2_6 Depth=1
	s_or_b64 exec, exec, s[8:9]
	v_sub_u32_e32 v15, v6, v14
	v_cmp_gt_i32_e32 vcc, v15, v0
	s_and_saveexec_b64 s[52:53], vcc
	s_cbranch_execz .LBB2_176
; %bb.174:                              ;   in Loop: Header=BB2_6 Depth=1
	v_add3_u32 v16, v0, v11, v2
	v_mad_u64_u32 v[18:19], s[8:9], v3, s21, v[14:15]
	v_mad_u64_u32 v[16:17], s[8:9], s21, v16, v[6:7]
	s_mov_b64 s[54:55], 0
	v_mov_b32_e32 v19, v0
.LBB2_175:                              ;   Parent Loop BB2_6 Depth=1
                                        ; =>  This Inner Loop Header: Depth=2
	v_add_u32_e32 v20, v18, v19
	v_ashrrev_i32_e32 v21, 31, v20
	v_lshlrev_b64 v[20:21], 2, v[20:21]
	v_mov_b32_e32 v22, s33
	v_add_co_u32_e32 v20, vcc, s20, v20
	v_addc_co_u32_e32 v21, vcc, v22, v21, vcc
	global_load_dword v23, v[20:21], off
	v_ashrrev_i32_e32 v17, 31, v16
	v_add_u32_e32 v19, 0x100, v19
	v_lshlrev_b64 v[20:21], 2, v[16:17]
	v_cmp_ge_i32_e32 vcc, v19, v15
	v_add_co_u32_e64 v20, s[8:9], s20, v20
	v_add_u32_e32 v16, s74, v16
	v_addc_co_u32_e64 v21, s[8:9], v22, v21, s[8:9]
	s_or_b64 s[54:55], vcc, s[54:55]
	s_waitcnt vmcnt(0)
	global_store_dword v[20:21], v23, off
	s_andn2_b64 exec, exec, s[54:55]
	s_cbranch_execnz .LBB2_175
.LBB2_176:                              ;   in Loop: Header=BB2_6 Depth=1
	s_or_b64 exec, exec, s[52:53]
	v_xad_u32 v15, v6, -1, s22
	v_cmp_gt_i32_e32 vcc, v15, v0
	s_and_saveexec_b64 s[8:9], vcc
	s_cbranch_execz .LBB2_179
; %bb.177:                              ;   in Loop: Header=BB2_6 Depth=1
	v_mul_lo_u32 v3, v3, s21
	v_mad_u64_u32 v[16:17], s[52:53], s65, v6, 1
	v_add3_u32 v3, v6, v3, 1
	s_mov_b64 s[52:53], 0
	v_mov_b32_e32 v17, v0
.LBB2_178:                              ;   Parent Loop BB2_6 Depth=1
                                        ; =>  This Inner Loop Header: Depth=2
	v_add_u32_e32 v18, v3, v17
	v_ashrrev_i32_e32 v19, 31, v18
	v_lshlrev_b64 v[18:19], 2, v[18:19]
	v_mov_b32_e32 v20, s33
	v_add_co_u32_e32 v18, vcc, s20, v18
	v_addc_co_u32_e32 v19, vcc, v20, v19, vcc
	global_load_dword v21, v[18:19], off
	v_add_u32_e32 v18, v16, v17
	v_add_u32_e32 v17, 0x100, v17
	v_ashrrev_i32_e32 v19, 31, v18
	v_cmp_ge_i32_e32 vcc, v17, v15
	v_lshlrev_b64 v[18:19], 2, v[18:19]
	s_or_b64 s[52:53], vcc, s[52:53]
	v_add_co_u32_e32 v18, vcc, s20, v18
	v_addc_co_u32_e32 v19, vcc, v20, v19, vcc
	s_waitcnt vmcnt(0)
	global_store_dword v[18:19], v21, off
	s_andn2_b64 exec, exec, s[52:53]
	s_cbranch_execnz .LBB2_178
.LBB2_179:                              ;   in Loop: Header=BB2_6 Depth=1
	s_or_b64 exec, exec, s[8:9]
	v_cmp_gt_u32_e32 vcc, v2, v0
	s_barrier
	s_and_saveexec_b64 s[8:9], vcc
	s_cbranch_execz .LBB2_182
; %bb.180:                              ;   in Loop: Header=BB2_6 Depth=1
	v_ashrrev_i32_e32 v3, 31, v14
	s_mov_b64 s[52:53], 0
	v_mov_b32_e32 v15, v35
	v_mov_b32_e32 v16, v0
.LBB2_181:                              ;   Parent Loop BB2_6 Depth=1
                                        ; =>  This Inner Loop Header: Depth=2
	v_ashrrev_i32_e32 v17, 31, v15
	v_add_co_u32_e32 v20, vcc, v15, v14
	v_addc_co_u32_e32 v21, vcc, v17, v3, vcc
	v_add_u32_e32 v18, v6, v15
	v_lshlrev_b64 v[20:21], 2, v[20:21]
	v_mov_b32_e32 v22, s69
	v_ashrrev_i32_e32 v19, 31, v18
	v_add_co_u32_e32 v20, vcc, s68, v20
	v_lshlrev_b64 v[18:19], 2, v[18:19]
	v_addc_co_u32_e32 v21, vcc, v22, v21, vcc
	v_mov_b32_e32 v23, s33
	v_add_co_u32_e32 v18, vcc, s20, v18
	v_addc_co_u32_e32 v19, vcc, v23, v19, vcc
	global_load_dword v17, v[18:19], off
	global_load_dword v22, v[20:21], off
	v_add_u32_e32 v16, 0x100, v16
	v_cmp_ge_u32_e32 vcc, v16, v2
	v_add_u32_e32 v15, s74, v15
	s_or_b64 s[52:53], vcc, s[52:53]
	s_waitcnt vmcnt(1)
	global_store_dword v[20:21], v17, off
	s_waitcnt vmcnt(1)
	global_store_dword v[18:19], v22, off
	s_andn2_b64 exec, exec, s[52:53]
	s_cbranch_execnz .LBB2_181
.LBB2_182:                              ;   in Loop: Header=BB2_6 Depth=1
	s_or_b64 exec, exec, s[8:9]
	v_cmp_gt_u32_e32 vcc, v14, v0
	s_and_b64 exec, exec, vcc
	s_cbranch_execz .LBB2_185
; %bb.183:                              ;   in Loop: Header=BB2_6 Depth=1
	v_add_co_u32_e32 v3, vcc, v4, v11
	v_addc_co_u32_e32 v11, vcc, 0, v1, vcc
	v_add_co_u32_e32 v16, vcc, v3, v2
	v_addc_co_u32_e32 v17, vcc, 0, v11, vcc
	v_lshlrev_b64 v[16:17], 2, v[16:17]
	v_add_co_u32_e32 v3, vcc, -4, v16
	v_add_u32_e32 v16, v4, v6
	v_addc_co_u32_e32 v11, vcc, -1, v17, vcc
	v_ashrrev_i32_e32 v17, 31, v16
	v_lshlrev_b64 v[16:17], 2, v[16:17]
	s_mov_b64 s[52:53], 0
	s_mov_b64 s[54:55], s[24:25]
	v_mov_b32_e32 v15, v0
.LBB2_184:                              ;   Parent Loop BB2_6 Depth=1
                                        ; =>  This Inner Loop Header: Depth=2
	v_mov_b32_e32 v19, s55
	v_add_co_u32_e32 v18, vcc, s54, v16
	v_add_co_u32_e64 v20, s[8:9], s54, v3
	v_addc_co_u32_e64 v21, s[8:9], v19, v11, s[8:9]
	v_addc_co_u32_e32 v19, vcc, v19, v17, vcc
	global_load_dword v22, v[18:19], off
	global_load_dword v23, v[20:21], off
	v_add_u32_e32 v15, 0x100, v15
	s_add_u32 s54, s54, s44
	s_addc_u32 s55, s55, s45
	v_cmp_ge_u32_e32 vcc, v15, v14
	s_or_b64 s[52:53], vcc, s[52:53]
	s_waitcnt vmcnt(1)
	global_store_dword v[20:21], v22, off
	s_waitcnt vmcnt(1)
	global_store_dword v[18:19], v23, off
	s_andn2_b64 exec, exec, s[52:53]
	s_cbranch_execnz .LBB2_184
.LBB2_185:                              ;   in Loop: Header=BB2_6 Depth=1
	s_barrier
.LBB2_186:                              ;   in Loop: Header=BB2_6 Depth=1
	s_or_b64 exec, exec, s[12:13]
	s_xor_b64 s[10:11], s[10:11], -1
                                        ; implicit-def: $sgpr12
                                        ; implicit-def: $sgpr8_sgpr9
	s_and_saveexec_b64 s[52:53], s[10:11]
	s_xor_b64 s[10:11], exec, s[52:53]
	s_cbranch_execz .LBB2_194
; %bb.187:                              ;   in Loop: Header=BB2_6 Depth=1
	v_cmp_gt_i32_e32 vcc, s66, v2
	s_and_saveexec_b64 s[12:13], vcc
	s_cbranch_execz .LBB2_191
; %bb.188:                              ;   in Loop: Header=BB2_6 Depth=1
	v_add_u32_e32 v3, v2, v25
	v_cmp_gt_i32_e32 vcc, s22, v3
	s_and_b64 exec, exec, vcc
	s_cbranch_execz .LBB2_191
; %bb.189:                              ;   in Loop: Header=BB2_6 Depth=1
	v_add_u32_e32 v14, v10, v38
	v_ashrrev_i32_e32 v15, 31, v14
	v_lshlrev_b64 v[14:15], 2, v[14:15]
	v_mov_b32_e32 v11, s25
	v_add_co_u32_e32 v14, vcc, s24, v14
	v_addc_co_u32_e32 v15, vcc, v11, v15, vcc
	v_mul_lo_u32 v11, v38, s22
	v_add_u32_e32 v16, v11, v38
	v_ashrrev_i32_e32 v17, 31, v16
	v_lshlrev_b64 v[16:17], 2, v[16:17]
	v_mov_b32_e32 v18, s25
	v_add_co_u32_e32 v16, vcc, s24, v16
	v_addc_co_u32_e32 v17, vcc, v18, v17, vcc
	global_load_dword v22, v[16:17], off
	s_nop 0
	global_load_dword v15, v[14:15], off
	s_nop 0
	global_load_dword v23, v[12:13], off
	v_mul_lo_u32 v17, s65, v2
	v_add3_u32 v16, v25, v10, v2
	v_add_u32_e32 v14, v36, v17
	v_add_u32_e32 v18, v25, v17
	;; [unrolled: 1-line block ×3, first 2 shown]
	v_ashrrev_i32_e32 v17, 31, v16
	v_lshlrev_b64 v[16:17], 2, v[16:17]
	v_mov_b32_e32 v39, s71
	v_ashrrev_i32_e32 v19, 31, v18
	v_add_co_u32_e32 v16, vcc, s70, v16
	v_lshlrev_b64 v[18:19], 2, v[18:19]
	v_addc_co_u32_e32 v17, vcc, v39, v17, vcc
	v_mov_b32_e32 v37, s73
	v_add_co_u32_e32 v18, vcc, s72, v18
	v_addc_co_u32_e32 v19, vcc, v37, v19, vcc
	v_ashrrev_i32_e32 v21, 31, v20
	v_lshlrev_b64 v[20:21], 2, v[20:21]
	s_mov_b64 s[52:53], 0
	s_waitcnt vmcnt(1)
	v_div_scale_f32 v11, s[8:9], v15, v15, v22
	s_waitcnt vmcnt(0)
	v_div_scale_f32 v40, s[8:9], v15, v15, v23
	v_rcp_f32_e32 v41, v11
	v_rcp_f32_e32 v42, v40
	v_div_scale_f32 v37, vcc, v22, v15, v22
	v_fma_f32 v44, -v11, v41, 1.0
	v_fma_f32 v45, -v40, v42, 1.0
	v_fmac_f32_e32 v41, v44, v41
	v_div_scale_f32 v43, s[8:9], v23, v15, v23
	v_fmac_f32_e32 v42, v45, v42
	v_mul_f32_e32 v44, v37, v41
	v_mul_f32_e32 v45, v43, v42
	v_fma_f32 v46, -v11, v44, v37
	v_fma_f32 v47, -v40, v45, v43
	v_fmac_f32_e32 v44, v46, v41
	v_fmac_f32_e32 v45, v47, v42
	v_fma_f32 v11, -v11, v44, v37
	v_fma_f32 v37, -v40, v45, v43
	v_div_fmas_f32 v11, v11, v41, v44
	s_mov_b64 vcc, s[8:9]
	v_div_fixup_f32 v11, v11, v15, v22
	v_div_fmas_f32 v22, v37, v42, v45
	v_div_fixup_f32 v22, v22, v15, v23
	v_fma_f32 v23, v11, v22, -1.0
	v_mul_f32_e32 v15, v15, v23
	v_div_scale_f32 v23, s[8:9], v15, v15, 1.0
	v_rcp_f32_e32 v37, v23
	v_add_co_u32_e32 v20, vcc, s70, v20
	v_addc_co_u32_e32 v21, vcc, v39, v21, vcc
	v_fma_f32 v40, -v23, v37, 1.0
	v_div_scale_f32 v39, vcc, 1.0, v15, 1.0
	v_fmac_f32_e32 v37, v40, v37
	v_mul_f32_e32 v40, v39, v37
	v_fma_f32 v41, -v23, v40, v39
	v_fmac_f32_e32 v40, v41, v37
	v_fma_f32 v23, -v23, v40, v39
	v_div_fmas_f32 v23, v23, v37, v40
	v_div_fixup_f32 v23, v23, v15, 1.0
.LBB2_190:                              ;   Parent Loop BB2_6 Depth=1
                                        ; =>  This Inner Loop Header: Depth=2
	global_load_dword v15, v[16:17], off
	global_load_dword v37, v[20:21], off
	v_add_u32_e32 v3, 0x100, v3
	v_cmp_le_i32_e32 vcc, s22, v3
	s_or_b64 s[52:53], vcc, s[52:53]
	v_mov_b32_e32 v42, s33
	s_waitcnt vmcnt(0)
	v_fma_f32 v15, v11, v15, -v37
	v_mul_f32_e32 v15, v23, v15
	global_store_dword v[18:19], v15, off
	global_load_dword v37, v[20:21], off
	global_load_dword v39, v[16:17], off
	v_add_co_u32_e32 v18, vcc, s63, v18
	v_addc_co_u32_e32 v19, vcc, 0, v19, vcc
	v_ashrrev_i32_e32 v15, 31, v14
	v_add_co_u32_e32 v20, vcc, 0x400, v20
	v_lshlrev_b64 v[40:41], 2, v[14:15]
	v_addc_co_u32_e32 v21, vcc, 0, v21, vcc
	v_add_co_u32_e64 v40, s[8:9], s20, v40
	v_add_co_u32_e32 v16, vcc, 0x400, v16
	v_add_u32_e32 v14, 0x100, v14
	v_addc_co_u32_e64 v41, s[8:9], v42, v41, s[8:9]
	v_addc_co_u32_e32 v17, vcc, 0, v17, vcc
	s_waitcnt vmcnt(0)
	v_fma_f32 v15, v22, v37, -v39
	v_mul_f32_e32 v15, v23, v15
	global_store_dword v[40:41], v15, off
	s_andn2_b64 exec, exec, s[52:53]
	s_cbranch_execnz .LBB2_190
.LBB2_191:                              ;   in Loop: Header=BB2_6 Depth=1
	s_or_b64 exec, exec, s[12:13]
	s_and_saveexec_b64 s[8:9], s[0:1]
	s_cbranch_execz .LBB2_193
; %bb.192:                              ;   in Loop: Header=BB2_6 Depth=1
	global_load_dword v3, v[12:13], off
	v_mul_lo_u32 v12, v2, s21
	v_mov_b32_e32 v16, s33
	v_add_co_u32_e32 v18, vcc, s20, v8
	v_ashrrev_i32_e32 v13, 31, v12
	v_add_u32_e32 v10, v10, v38
	v_addc_co_u32_e32 v19, vcc, v16, v9, vcc
	v_lshlrev_b64 v[14:15], 2, v[12:13]
	v_ashrrev_i32_e32 v11, 31, v10
	v_add_co_u32_e32 v14, vcc, v18, v14
	v_lshlrev_b64 v[10:11], 2, v[10:11]
	v_addc_co_u32_e32 v15, vcc, v19, v15, vcc
	v_mov_b32_e32 v17, s25
	v_add_co_u32_e32 v10, vcc, s24, v10
	v_addc_co_u32_e32 v11, vcc, v17, v11, vcc
	v_add_u32_e32 v12, v38, v12
	v_ashrrev_i32_e32 v13, 31, v12
	v_lshlrev_b64 v[12:13], 2, v[12:13]
	v_add_co_u32_e32 v12, vcc, s20, v12
	v_addc_co_u32_e32 v13, vcc, v16, v13, vcc
	s_waitcnt vmcnt(0)
	global_store_dword v[14:15], v3, off
	global_load_dword v3, v[10:11], off
	v_mul_lo_u32 v10, v38, s67
	v_ashrrev_i32_e32 v11, 31, v10
	v_lshlrev_b64 v[10:11], 2, v[10:11]
	v_mov_b32_e32 v14, s25
	v_add_co_u32_e32 v10, vcc, s24, v10
	v_addc_co_u32_e32 v11, vcc, v14, v11, vcc
	s_waitcnt vmcnt(0)
	global_store_dword v[12:13], v3, off
	global_load_dword v3, v[10:11], off
	v_mul_lo_u32 v10, v38, s65
	v_ashrrev_i32_e32 v11, 31, v10
	v_lshlrev_b64 v[10:11], 2, v[10:11]
	v_add_co_u32_e32 v10, vcc, s20, v10
	v_addc_co_u32_e32 v11, vcc, v16, v11, vcc
	s_waitcnt vmcnt(0)
	global_store_dword v[10:11], v3, off
.LBB2_193:                              ;   in Loop: Header=BB2_6 Depth=1
	s_or_b64 exec, exec, s[8:9]
	s_mov_b64 s[8:9], 0
	s_mov_b32 s12, 2
	s_barrier
	s_waitcnt lgkmcnt(0)
                                        ; implicit-def: $vgpr12_vgpr13
                                        ; implicit-def: $vgpr37
                                        ; implicit-def: $vgpr10_vgpr11
.LBB2_194:                              ;   in Loop: Header=BB2_6 Depth=1
	s_or_saveexec_b64 s[10:11], s[10:11]
	v_mov_b32_e32 v3, s12
	s_xor_b64 exec, exec, s[10:11]
	s_cbranch_execz .LBB2_201
; %bb.195:                              ;   in Loop: Header=BB2_6 Depth=1
	global_load_dword v3, v[12:13], off
	s_and_saveexec_b64 s[12:13], s[0:1]
	s_cbranch_execz .LBB2_197
; %bb.196:                              ;   in Loop: Header=BB2_6 Depth=1
	v_mul_lo_u32 v12, v2, s65
	v_ashrrev_i32_e32 v13, 31, v12
	v_lshlrev_b64 v[12:13], 2, v[12:13]
	v_mov_b32_e32 v11, s33
	v_add_co_u32_e32 v12, vcc, s20, v12
	v_addc_co_u32_e32 v13, vcc, v11, v13, vcc
	s_waitcnt vmcnt(0)
	global_store_dword v[12:13], v3, off
.LBB2_197:                              ;   in Loop: Header=BB2_6 Depth=1
	s_or_b64 exec, exec, s[12:13]
	s_and_saveexec_b64 s[12:13], s[6:7]
	s_cbranch_execz .LBB2_200
; %bb.198:                              ;   in Loop: Header=BB2_6 Depth=1
	s_waitcnt vmcnt(0)
	v_div_scale_f32 v11, s[6:7], v3, v3, 1.0
	v_rcp_f32_e32 v12, v11
	v_div_scale_f32 v13, vcc, 1.0, v3, 1.0
	v_add3_u32 v10, v10, v2, 1
	v_fma_f32 v14, -v11, v12, 1.0
	v_fmac_f32_e32 v12, v14, v12
	v_mul_f32_e32 v14, v13, v12
	v_fma_f32 v15, -v11, v14, v13
	v_fmac_f32_e32 v14, v15, v12
	v_fma_f32 v11, -v11, v14, v13
	v_div_fmas_f32 v11, v11, v12, v14
	v_mad_u64_u32 v[12:13], s[6:7], s65, v2, 1
	v_div_fixup_f32 v3, v11, v3, 1.0
	s_mov_b64 s[6:7], 0
	v_mov_b32_e32 v11, v0
.LBB2_199:                              ;   Parent Loop BB2_6 Depth=1
                                        ; =>  This Inner Loop Header: Depth=2
	v_add_u32_e32 v14, v10, v11
	v_ashrrev_i32_e32 v15, 31, v14
	v_lshlrev_b64 v[14:15], 2, v[14:15]
	v_mov_b32_e32 v13, s25
	v_add_co_u32_e32 v14, vcc, s24, v14
	v_addc_co_u32_e32 v15, vcc, v13, v15, vcc
	global_load_dword v13, v[14:15], off
	v_add_u32_e32 v14, v12, v11
	v_add_u32_e32 v11, 0x100, v11
	v_ashrrev_i32_e32 v15, 31, v14
	v_cmp_ge_i32_e32 vcc, v11, v37
	v_lshlrev_b64 v[14:15], 2, v[14:15]
	v_mov_b32_e32 v16, s33
	s_or_b64 s[6:7], vcc, s[6:7]
	v_add_co_u32_e32 v14, vcc, s20, v14
	v_addc_co_u32_e32 v15, vcc, v16, v15, vcc
	s_waitcnt vmcnt(0)
	v_mul_f32_e32 v13, v3, v13
	global_store_dword v[14:15], v13, off
	s_andn2_b64 exec, exec, s[6:7]
	s_cbranch_execnz .LBB2_199
.LBB2_200:                              ;   in Loop: Header=BB2_6 Depth=1
	s_or_b64 exec, exec, s[12:13]
	s_waitcnt vmcnt(0)
	v_mov_b32_e32 v3, 1
	s_or_b64 s[8:9], s[8:9], exec
	s_barrier
.LBB2_201:                              ;   in Loop: Header=BB2_6 Depth=1
	s_or_b64 exec, exec, s[10:11]
	s_branch .LBB2_205
.LBB2_202:                              ;   in Loop: Header=BB2_6 Depth=1
	ds_read_b32 v3, v7 offset:2052
	s_waitcnt lgkmcnt(0)
	v_readfirstlane_b32 s6, v3
	s_cmp_eq_u32 s6, 0
	s_cselect_b64 s[6:7], -1, 0
	s_and_b64 s[8:9], s[0:1], s[6:7]
	s_and_saveexec_b64 s[6:7], s[8:9]
	s_cbranch_execz .LBB2_204
; %bb.203:                              ;   in Loop: Header=BB2_6 Depth=1
	ds_write_b32 v7, v38 offset:2052
.LBB2_204:                              ;   in Loop: Header=BB2_6 Depth=1
	s_or_b64 exec, exec, s[6:7]
	s_mov_b64 s[8:9], -1
	v_mov_b32_e32 v3, 1
	v_mov_b32_e32 v6, v2
.LBB2_205:                              ;   in Loop: Header=BB2_6 Depth=1
	s_and_saveexec_b64 s[6:7], s[0:1]
	s_cbranch_execz .LBB2_4
; %bb.206:                              ;   in Loop: Header=BB2_6 Depth=1
	v_mov_b32_e32 v10, s61
	v_add_co_u32_e32 v8, vcc, s60, v8
	s_xor_b64 s[8:9], s[8:9], -1
	v_addc_co_u32_e32 v9, vcc, v10, v9, vcc
	s_and_saveexec_b64 s[10:11], s[8:9]
	s_xor_b64 s[8:9], exec, s[10:11]
	s_cbranch_execz .LBB2_208
; %bb.207:                              ;   in Loop: Header=BB2_6 Depth=1
	v_not_b32_e32 v10, v6
	v_mov_b32_e32 v11, v10
	global_store_dwordx2 v[8:9], v[10:11], off
                                        ; implicit-def: $vgpr6
                                        ; implicit-def: $vgpr8_vgpr9
.LBB2_208:                              ;   in Loop: Header=BB2_6 Depth=1
	s_andn2_saveexec_b64 s[8:9], s[8:9]
	s_cbranch_execz .LBB2_4
; %bb.209:                              ;   in Loop: Header=BB2_6 Depth=1
	v_add_u32_e32 v6, 1, v6
	global_store_dword v[8:9], v6, off
	s_branch .LBB2_4
.LBB2_210:
	s_or_b64 exec, exec, s[46:47]
	s_and_saveexec_b64 s[2:3], s[0:1]
	s_cbranch_execz .LBB2_212
.LBB2_211:
	v_mov_b32_e32 v1, 0
	s_lshl_b64 s[0:1], s[34:35], 2
	ds_read_b32 v3, v1 offset:2052
	s_add_u32 s4, s16, s0
	s_addc_u32 s5, s17, s1
	s_add_u32 s0, s14, s0
	s_addc_u32 s1, s15, s1
	global_store_dword v1, v2, s[4:5]
	s_waitcnt lgkmcnt(0)
	global_store_dword v1, v3, s[0:1]
.LBB2_212:
	s_or_b64 exec, exec, s[2:3]
	v_cmp_gt_i32_e32 vcc, s22, v2
	s_and_saveexec_b64 s[4:5], vcc
	s_cbranch_execz .LBB2_233
; %bb.213:
	v_ashrrev_i32_e32 v3, 31, v2
	s_add_u32 s2, s26, s36
	v_lshlrev_b64 v[6:7], 2, v[2:3]
	s_addc_u32 s3, s27, s37
	v_mov_b32_e32 v1, s3
	v_add_co_u32_e32 v4, vcc, s2, v6
	s_ashr_i32 s3, s23, 31
	s_mov_b32 s2, s23
	s_lshl_b64 s[6:7], s[2:3], 2
	s_ashr_i32 s3, s22, 31
	s_mov_b32 s2, s22
	s_lshl_b64 s[8:9], s[2:3], 2
	s_add_u32 s2, s28, s30
	v_addc_co_u32_e32 v5, vcc, v1, v7, vcc
	s_addc_u32 s3, s29, s31
	v_mov_b32_e32 v1, s3
	v_add_co_u32_e32 v3, vcc, s2, v6
	v_addc_co_u32_e32 v1, vcc, v1, v7, vcc
	v_add_co_u32_e32 v3, vcc, v3, v24
	v_addc_co_u32_e32 v1, vcc, 0, v1, vcc
	s_ashr_i32 s3, s21, 31
	s_mov_b32 s2, s21
	v_mov_b32_e32 v6, s19
	v_add_co_u32_e32 v8, vcc, s18, v3
	s_lshl_b64 s[10:11], s[2:3], 2
	v_cmp_ne_u32_e64 s[0:1], 0, v2
	v_mov_b32_e32 v7, 0
	v_addc_co_u32_e32 v9, vcc, v6, v1, vcc
	s_mov_b64 s[12:13], 0
	v_mov_b32_e32 v1, s9
	v_mov_b32_e32 v3, s11
	;; [unrolled: 1-line block ×3, first 2 shown]
	s_branch .LBB2_215
.LBB2_214:                              ;   in Loop: Header=BB2_215 Depth=1
	s_or_b64 exec, exec, s[2:3]
	v_mov_b32_e32 v6, s7
	v_add_co_u32_e32 v4, vcc, s6, v4
	v_add_u32_e32 v10, s23, v10
	v_addc_co_u32_e32 v5, vcc, v5, v6, vcc
	v_cmp_le_i32_e32 vcc, s22, v10
	s_or_b64 s[12:13], vcc, s[12:13]
	v_add_co_u32_e32 v8, vcc, s6, v8
	v_addc_co_u32_e32 v9, vcc, v9, v6, vcc
	s_andn2_b64 exec, exec, s[12:13]
	s_cbranch_execz .LBB2_233
.LBB2_215:                              ; =>This Loop Header: Depth=1
                                        ;     Child Loop BB2_218 Depth 2
                                        ;       Child Loop BB2_221 Depth 3
                                        ;         Child Loop BB2_223 Depth 4
                                        ;     Child Loop BB2_229 Depth 2
                                        ;       Child Loop BB2_231 Depth 3
	v_sub_u32_e32 v11, s22, v10
	v_min_i32_e32 v13, s23, v11
	v_add_u32_e32 v12, v13, v10
	v_cmp_lt_i32_e32 vcc, 0, v13
	s_and_saveexec_b64 s[14:15], vcc
	s_cbranch_execz .LBB2_225
; %bb.216:                              ;   in Loop: Header=BB2_215 Depth=1
	s_mov_b64 s[16:17], 0
	v_pk_mov_b32 v[14:15], v[8:9], v[8:9] op_sel:[0,1]
	v_pk_mov_b32 v[16:17], v[4:5], v[4:5] op_sel:[0,1]
	v_mov_b32_e32 v18, v10
	s_branch .LBB2_218
.LBB2_217:                              ;   in Loop: Header=BB2_218 Depth=2
	s_or_b64 exec, exec, s[18:19]
	v_add_co_u32_e32 v16, vcc, 4, v16
	v_add_u32_e32 v18, 1, v18
	v_addc_co_u32_e32 v17, vcc, 0, v17, vcc
	v_cmp_ge_i32_e32 vcc, v18, v12
	s_or_b64 s[16:17], vcc, s[16:17]
	v_add_co_u32_e32 v14, vcc, 4, v14
	v_addc_co_u32_e32 v15, vcc, 0, v15, vcc
	s_andn2_b64 exec, exec, s[16:17]
	s_cbranch_execz .LBB2_225
.LBB2_218:                              ;   Parent Loop BB2_215 Depth=1
                                        ; =>  This Loop Header: Depth=2
                                        ;       Child Loop BB2_221 Depth 3
                                        ;         Child Loop BB2_223 Depth 4
	v_sub_u32_e32 v27, v12, v18
	v_cmp_gt_i32_e32 vcc, v27, v0
	s_and_saveexec_b64 s[18:19], vcc
	s_cbranch_execz .LBB2_217
; %bb.219:                              ;   in Loop: Header=BB2_218 Depth=2
	v_ashrrev_i32_e32 v19, 31, v18
	v_lshlrev_b64 v[20:21], 2, v[18:19]
	v_mov_b32_e32 v6, s33
	v_add_co_u32_e32 v19, vcc, s20, v20
	v_mul_lo_u32 v20, v18, s21
	v_addc_co_u32_e32 v6, vcc, v6, v21, vcc
	v_ashrrev_i32_e32 v21, 31, v20
	v_lshlrev_b64 v[20:21], 2, v[20:21]
	v_add_co_u32_e32 v19, vcc, v19, v20
	v_addc_co_u32_e32 v28, vcc, v6, v21, vcc
	s_mov_b64 s[26:27], 0
	v_pk_mov_b32 v[20:21], v[14:15], v[14:15] op_sel:[0,1]
	v_mov_b32_e32 v6, v0
	s_branch .LBB2_221
.LBB2_220:                              ;   in Loop: Header=BB2_221 Depth=3
	s_or_b64 exec, exec, s[2:3]
	v_lshlrev_b64 v[22:23], 2, v[6:7]
	v_add_co_u32_e32 v22, vcc, v19, v22
	v_addc_co_u32_e32 v23, vcc, v28, v23, vcc
	global_load_dword v24, v[22:23], off
	v_add_u32_e32 v6, 0x100, v6
	v_add_co_u32_e32 v20, vcc, 0x400, v20
	v_cmp_ge_i32_e64 s[2:3], v6, v27
	s_or_b64 s[26:27], s[2:3], s[26:27]
	v_addc_co_u32_e32 v21, vcc, 0, v21, vcc
	s_waitcnt vmcnt(0)
	v_sub_f32_e32 v24, v24, v29
	global_store_dword v[22:23], v24, off
	s_andn2_b64 exec, exec, s[26:27]
	s_cbranch_execz .LBB2_217
.LBB2_221:                              ;   Parent Loop BB2_215 Depth=1
                                        ;     Parent Loop BB2_218 Depth=2
                                        ; =>    This Loop Header: Depth=3
                                        ;         Child Loop BB2_223 Depth 4
	v_mov_b32_e32 v29, 0
	s_and_saveexec_b64 s[2:3], s[0:1]
	s_cbranch_execz .LBB2_220
; %bb.222:                              ;   in Loop: Header=BB2_221 Depth=3
	s_mov_b64 s[28:29], 0
	v_mov_b32_e32 v29, 0
	v_pk_mov_b32 v[22:23], v[20:21], v[20:21] op_sel:[0,1]
	v_pk_mov_b32 v[24:25], v[16:17], v[16:17] op_sel:[0,1]
	v_mov_b32_e32 v30, v2
.LBB2_223:                              ;   Parent Loop BB2_215 Depth=1
                                        ;     Parent Loop BB2_218 Depth=2
                                        ;       Parent Loop BB2_221 Depth=3
                                        ; =>      This Inner Loop Header: Depth=4
	global_load_dword v31, v[22:23], off
	global_load_dword v32, v[24:25], off
	v_add_co_u32_e32 v24, vcc, s8, v24
	v_addc_co_u32_e32 v25, vcc, v25, v1, vcc
	v_add_co_u32_e32 v22, vcc, s10, v22
	v_add_u32_e32 v30, -1, v30
	v_addc_co_u32_e32 v23, vcc, v23, v3, vcc
	v_cmp_eq_u32_e32 vcc, 0, v30
	s_or_b64 s[28:29], vcc, s[28:29]
	s_waitcnt vmcnt(0)
	v_fmac_f32_e32 v29, v31, v32
	s_andn2_b64 exec, exec, s[28:29]
	s_cbranch_execnz .LBB2_223
; %bb.224:                              ;   in Loop: Header=BB2_221 Depth=3
	s_or_b64 exec, exec, s[28:29]
	s_branch .LBB2_220
.LBB2_225:                              ;   in Loop: Header=BB2_215 Depth=1
	s_or_b64 exec, exec, s[14:15]
	v_cmp_gt_i32_e32 vcc, s22, v12
	s_and_saveexec_b64 s[2:3], vcc
	s_cbranch_execz .LBB2_214
; %bb.226:                              ;   in Loop: Header=BB2_215 Depth=1
	v_sub_u32_e32 v18, v11, v13
	v_mul_lo_u32 v19, v18, v13
	v_cmp_gt_i32_e32 vcc, v19, v0
	s_and_b64 exec, exec, vcc
	s_cbranch_execz .LBB2_214
; %bb.227:                              ;   in Loop: Header=BB2_215 Depth=1
	v_ashrrev_i32_e32 v13, 31, v12
	v_lshlrev_b64 v[14:15], 2, v[12:13]
	v_mov_b32_e32 v6, s33
	v_add_co_u32_e32 v13, vcc, s20, v14
	v_ashrrev_i32_e32 v11, 31, v10
	v_addc_co_u32_e32 v20, vcc, v6, v15, vcc
	v_lshlrev_b64 v[14:15], 2, v[10:11]
	v_sub_u32_e32 v11, 0, v18
	v_max_i32_e32 v11, v18, v11
	v_cvt_f32_u32_e32 v12, v11
	v_mov_b32_e32 v6, s25
	v_add_co_u32_e32 v21, vcc, s24, v14
	v_addc_co_u32_e32 v22, vcc, v6, v15, vcc
	v_rcp_iflag_f32_e32 v6, v12
	v_mul_lo_u32 v14, v10, s21
	v_ashrrev_i32_e32 v15, 31, v14
	v_sub_u32_e32 v12, 0, v11
	v_mul_f32_e32 v6, 0x4f7ffffe, v6
	v_cvt_u32_f32_e32 v6, v6
	v_lshlrev_b64 v[14:15], 2, v[14:15]
	v_add_co_u32_e32 v23, vcc, v13, v14
	v_mul_lo_u32 v12, v12, v6
	v_mul_hi_u32 v12, v6, v12
	v_addc_co_u32_e32 v24, vcc, v20, v15, vcc
	v_ashrrev_i32_e32 v25, 31, v18
	v_add_u32_e32 v6, v6, v12
	s_mov_b64 s[14:15], 0
	v_mov_b32_e32 v27, v0
	s_branch .LBB2_229
.LBB2_228:                              ;   in Loop: Header=BB2_229 Depth=2
	s_or_b64 exec, exec, s[16:17]
	v_mad_u64_u32 v[14:15], s[16:17], v29, s21, v[12:13]
	v_ashrrev_i32_e32 v15, 31, v14
	v_lshlrev_b64 v[14:15], 2, v[14:15]
	v_add_co_u32_e32 v14, vcc, v23, v14
	v_addc_co_u32_e32 v15, vcc, v24, v15, vcc
	global_load_dword v12, v[14:15], off
	v_add_u32_e32 v27, 0x100, v27
	v_cmp_ge_i32_e32 vcc, v27, v19
	s_or_b64 s[14:15], vcc, s[14:15]
	s_waitcnt vmcnt(0)
	v_sub_f32_e32 v12, v12, v28
	global_store_dword v[14:15], v12, off
	s_andn2_b64 exec, exec, s[14:15]
	s_cbranch_execz .LBB2_214
.LBB2_229:                              ;   Parent Loop BB2_215 Depth=1
                                        ; =>  This Loop Header: Depth=2
                                        ;       Child Loop BB2_231 Depth 3
	v_mul_hi_u32 v12, v27, v6
	v_mul_lo_u32 v14, v12, v11
	v_sub_u32_e32 v14, v27, v14
	v_add_u32_e32 v15, 1, v12
	v_cmp_ge_u32_e32 vcc, v14, v11
	v_cndmask_b32_e32 v12, v12, v15, vcc
	v_sub_u32_e32 v15, v14, v11
	v_cndmask_b32_e32 v14, v14, v15, vcc
	v_add_u32_e32 v15, 1, v12
	v_cmp_ge_u32_e32 vcc, v14, v11
	v_cndmask_b32_e32 v12, v12, v15, vcc
	v_xor_b32_e32 v12, v12, v25
	v_sub_u32_e32 v29, v12, v25
	v_mul_lo_u32 v12, v29, v18
	v_sub_u32_e32 v12, v27, v12
	v_mov_b32_e32 v28, 0
	s_and_saveexec_b64 s[16:17], s[0:1]
	s_cbranch_execz .LBB2_228
; %bb.230:                              ;   in Loop: Header=BB2_229 Depth=2
	s_mov_b64 s[18:19], 0
	v_mov_b32_e32 v28, 0
	v_mov_b32_e32 v14, v12
	;; [unrolled: 1-line block ×4, first 2 shown]
.LBB2_231:                              ;   Parent Loop BB2_215 Depth=1
                                        ;     Parent Loop BB2_229 Depth=2
                                        ; =>    This Inner Loop Header: Depth=3
	v_ashrrev_i32_e32 v15, 31, v14
	v_lshlrev_b64 v[32:33], 2, v[14:15]
	v_add_co_u32_e32 v32, vcc, v13, v32
	v_addc_co_u32_e32 v33, vcc, v20, v33, vcc
	v_ashrrev_i32_e32 v17, 31, v16
	global_load_dword v15, v[32:33], off
	v_lshlrev_b64 v[32:33], 2, v[16:17]
	v_add_co_u32_e32 v32, vcc, v21, v32
	v_addc_co_u32_e32 v33, vcc, v22, v33, vcc
	global_load_dword v17, v[32:33], off
	v_add_u32_e32 v30, -1, v30
	v_cmp_eq_u32_e32 vcc, 0, v30
	v_add_u32_e32 v16, s22, v16
	s_or_b64 s[18:19], vcc, s[18:19]
	v_add_u32_e32 v14, s21, v14
	s_waitcnt vmcnt(0)
	v_fmac_f32_e32 v28, v15, v17
	s_andn2_b64 exec, exec, s[18:19]
	s_cbranch_execnz .LBB2_231
; %bb.232:                              ;   in Loop: Header=BB2_229 Depth=2
	s_or_b64 exec, exec, s[18:19]
	s_branch .LBB2_228
.LBB2_233:
	s_or_b64 exec, exec, s[4:5]
	v_cmp_lt_i32_e32 vcc, 1, v2
	s_waitcnt lgkmcnt(0)
	s_barrier
	s_and_saveexec_b64 s[0:1], vcc
	s_cbranch_execz .LBB2_241
; %bb.234:
	s_add_u32 s6, s20, -4
	s_addc_u32 s7, s33, -1
	s_lshl_b32 s8, s21, 8
	s_mov_b64 s[2:3], 0
	v_mov_b32_e32 v5, 0
	v_mov_b32_e32 v3, s61
	s_branch .LBB2_237
.LBB2_235:                              ;   in Loop: Header=BB2_237 Depth=1
	s_barrier
.LBB2_236:                              ;   in Loop: Header=BB2_237 Depth=1
	s_or_b64 exec, exec, s[0:1]
	v_cmp_gt_i32_e32 vcc, 2, v6
	s_or_b64 s[2:3], vcc, s[2:3]
	v_mov_b32_e32 v2, v6
	s_andn2_b64 exec, exec, s[2:3]
	s_cbranch_execz .LBB2_241
.LBB2_237:                              ; =>This Loop Header: Depth=1
                                        ;     Child Loop BB2_240 Depth 2
	v_add_u32_e32 v4, -1, v2
	v_lshlrev_b64 v[6:7], 2, v[4:5]
	v_add_co_u32_e32 v6, vcc, s60, v6
	v_addc_co_u32_e32 v7, vcc, v3, v7, vcc
	global_load_dword v1, v[6:7], off
	v_add_u32_e32 v6, -2, v2
	s_waitcnt vmcnt(0)
	v_not_b32_e32 v7, v1
	v_add_u32_e32 v8, -1, v1
	v_cmp_gt_i32_e32 vcc, 0, v1
	v_cndmask_b32_e32 v7, v8, v7, vcc
	v_cndmask_b32_e32 v6, v4, v6, vcc
	v_cmp_ne_u32_e32 vcc, v7, v4
	v_cmp_ne_u32_e64 s[0:1], 0, v6
	s_and_b64 s[4:5], vcc, s[0:1]
	s_and_saveexec_b64 s[0:1], s[4:5]
	s_cbranch_execz .LBB2_236
; %bb.238:                              ;   in Loop: Header=BB2_237 Depth=1
	v_cmp_gt_i32_e32 vcc, v6, v0
	s_and_b64 exec, exec, vcc
	s_cbranch_execz .LBB2_235
; %bb.239:                              ;   in Loop: Header=BB2_237 Depth=1
	v_ashrrev_i32_e32 v1, 31, v2
	s_mov_b64 s[4:5], 0
	v_mov_b32_e32 v4, v26
	v_mov_b32_e32 v8, v0
.LBB2_240:                              ;   Parent Loop BB2_237 Depth=1
                                        ; =>  This Inner Loop Header: Depth=2
	v_add_u32_e32 v10, v7, v4
	v_ashrrev_i32_e32 v13, 31, v4
	v_add_co_u32_e32 v12, vcc, v4, v2
	v_ashrrev_i32_e32 v11, 31, v10
	v_addc_co_u32_e32 v13, vcc, v13, v1, vcc
	v_lshlrev_b64 v[10:11], 2, v[10:11]
	v_mov_b32_e32 v9, s33
	v_add_co_u32_e32 v10, vcc, s20, v10
	v_lshlrev_b64 v[12:13], 2, v[12:13]
	v_addc_co_u32_e32 v11, vcc, v9, v11, vcc
	v_mov_b32_e32 v14, s7
	v_add_co_u32_e32 v12, vcc, s6, v12
	v_addc_co_u32_e32 v13, vcc, v14, v13, vcc
	global_load_dword v9, v[12:13], off
	global_load_dword v14, v[10:11], off
	v_add_u32_e32 v8, 0x100, v8
	v_cmp_ge_i32_e32 vcc, v8, v6
	v_add_u32_e32 v4, s8, v4
	s_or_b64 s[4:5], vcc, s[4:5]
	s_waitcnt vmcnt(1)
	global_store_dword v[10:11], v9, off
	s_waitcnt vmcnt(1)
	global_store_dword v[12:13], v14, off
	s_andn2_b64 exec, exec, s[4:5]
	s_cbranch_execnz .LBB2_240
	s_branch .LBB2_235
.LBB2_241:
	s_endpgm
.LBB2_242:
	v_mov_b32_e32 v2, 0
	s_and_saveexec_b64 s[2:3], s[0:1]
	s_cbranch_execnz .LBB2_211
	s_branch .LBB2_212
	.section	.rodata,"a",@progbits
	.p2align	6, 0x0
	.amdhsa_kernel _ZN9rocsolver6v33100L18lasyf_kernel_lowerIfPfEEviiPiT0_iilS3_lS3_PT_
		.amdhsa_group_segment_fixed_size 2068
		.amdhsa_private_segment_fixed_size 0
		.amdhsa_kernarg_size 72
		.amdhsa_user_sgpr_count 6
		.amdhsa_user_sgpr_private_segment_buffer 1
		.amdhsa_user_sgpr_dispatch_ptr 0
		.amdhsa_user_sgpr_queue_ptr 0
		.amdhsa_user_sgpr_kernarg_segment_ptr 1
		.amdhsa_user_sgpr_dispatch_id 0
		.amdhsa_user_sgpr_flat_scratch_init 0
		.amdhsa_user_sgpr_kernarg_preload_length 0
		.amdhsa_user_sgpr_kernarg_preload_offset 0
		.amdhsa_user_sgpr_private_segment_size 0
		.amdhsa_uses_dynamic_stack 0
		.amdhsa_system_sgpr_private_segment_wavefront_offset 0
		.amdhsa_system_sgpr_workgroup_id_x 1
		.amdhsa_system_sgpr_workgroup_id_y 1
		.amdhsa_system_sgpr_workgroup_id_z 0
		.amdhsa_system_sgpr_workgroup_info 0
		.amdhsa_system_vgpr_workitem_id 0
		.amdhsa_next_free_vgpr 48
		.amdhsa_next_free_sgpr 76
		.amdhsa_accum_offset 48
		.amdhsa_reserve_vcc 1
		.amdhsa_reserve_flat_scratch 0
		.amdhsa_float_round_mode_32 0
		.amdhsa_float_round_mode_16_64 0
		.amdhsa_float_denorm_mode_32 3
		.amdhsa_float_denorm_mode_16_64 3
		.amdhsa_dx10_clamp 1
		.amdhsa_ieee_mode 1
		.amdhsa_fp16_overflow 0
		.amdhsa_tg_split 0
		.amdhsa_exception_fp_ieee_invalid_op 0
		.amdhsa_exception_fp_denorm_src 0
		.amdhsa_exception_fp_ieee_div_zero 0
		.amdhsa_exception_fp_ieee_overflow 0
		.amdhsa_exception_fp_ieee_underflow 0
		.amdhsa_exception_fp_ieee_inexact 0
		.amdhsa_exception_int_div_zero 0
	.end_amdhsa_kernel
	.section	.text._ZN9rocsolver6v33100L18lasyf_kernel_lowerIfPfEEviiPiT0_iilS3_lS3_PT_,"axG",@progbits,_ZN9rocsolver6v33100L18lasyf_kernel_lowerIfPfEEviiPiT0_iilS3_lS3_PT_,comdat
.Lfunc_end2:
	.size	_ZN9rocsolver6v33100L18lasyf_kernel_lowerIfPfEEviiPiT0_iilS3_lS3_PT_, .Lfunc_end2-_ZN9rocsolver6v33100L18lasyf_kernel_lowerIfPfEEviiPiT0_iilS3_lS3_PT_
                                        ; -- End function
	.section	.AMDGPU.csdata,"",@progbits
; Kernel info:
; codeLenInByte = 9284
; NumSgprs: 80
; NumVgprs: 48
; NumAgprs: 0
; TotalNumVgprs: 48
; ScratchSize: 0
; MemoryBound: 0
; FloatMode: 240
; IeeeMode: 1
; LDSByteSize: 2068 bytes/workgroup (compile time only)
; SGPRBlocks: 9
; VGPRBlocks: 5
; NumSGPRsForWavesPerEU: 80
; NumVGPRsForWavesPerEU: 48
; AccumOffset: 48
; Occupancy: 8
; WaveLimiterHint : 1
; COMPUTE_PGM_RSRC2:SCRATCH_EN: 0
; COMPUTE_PGM_RSRC2:USER_SGPR: 6
; COMPUTE_PGM_RSRC2:TRAP_HANDLER: 0
; COMPUTE_PGM_RSRC2:TGID_X_EN: 1
; COMPUTE_PGM_RSRC2:TGID_Y_EN: 1
; COMPUTE_PGM_RSRC2:TGID_Z_EN: 0
; COMPUTE_PGM_RSRC2:TIDIG_COMP_CNT: 0
; COMPUTE_PGM_RSRC3_GFX90A:ACCUM_OFFSET: 11
; COMPUTE_PGM_RSRC3_GFX90A:TG_SPLIT: 0
	.section	.text._ZN9rocsolver6v33100L18lasyf_kernel_upperIdPdEEviiPiT0_iilS3_lS3_PT_,"axG",@progbits,_ZN9rocsolver6v33100L18lasyf_kernel_upperIdPdEEviiPiT0_iilS3_lS3_PT_,comdat
	.globl	_ZN9rocsolver6v33100L18lasyf_kernel_upperIdPdEEviiPiT0_iilS3_lS3_PT_ ; -- Begin function _ZN9rocsolver6v33100L18lasyf_kernel_upperIdPdEEviiPiT0_iilS3_lS3_PT_
	.p2align	8
	.type	_ZN9rocsolver6v33100L18lasyf_kernel_upperIdPdEEviiPiT0_iilS3_lS3_PT_,@function
_ZN9rocsolver6v33100L18lasyf_kernel_upperIdPdEEviiPiT0_iilS3_lS3_PT_: ; @_ZN9rocsolver6v33100L18lasyf_kernel_upperIdPdEEviiPiT0_iilS3_lS3_PT_
; %bb.0:
	s_mov_b32 s34, s7
	v_cmp_eq_u32_e64 s[0:1], 0, v0
	s_and_saveexec_b64 s[2:3], s[0:1]
	s_cbranch_execz .LBB3_2
; %bb.1:
	v_mov_b32_e32 v1, 0
	ds_write_b32 v1, v1 offset:3100
.LBB3_2:
	s_or_b64 exec, exec, s[2:3]
	s_load_dwordx2 s[20:21], s[4:5], 0x18
	s_load_dwordx2 s[22:23], s[4:5], 0x0
	s_load_dwordx4 s[16:19], s[4:5], 0x8
	s_load_dwordx8 s[8:15], s[4:5], 0x20
	s_load_dwordx2 s[24:25], s[4:5], 0x40
	s_ashr_i32 s35, s34, 31
	s_waitcnt lgkmcnt(0)
	s_ashr_i32 s3, s20, 31
	s_mov_b32 s2, s20
	s_mul_i32 s4, s34, s9
	s_mul_hi_u32 s5, s34, s8
	s_add_i32 s4, s5, s4
	s_mul_i32 s5, s35, s8
	s_add_i32 s5, s4, s5
	s_mul_i32 s4, s34, s8
	s_lshl_b64 s[26:27], s[4:5], 3
	s_add_u32 s4, s18, s26
	s_addc_u32 s5, s19, s27
	s_lshl_b64 s[28:29], s[2:3], 3
	s_mul_i32 s2, s34, s22
	s_add_u32 s20, s4, s28
	s_mul_i32 s2, s2, s23
	s_addc_u32 s33, s5, s29
	s_ashr_i32 s3, s2, 31
	s_lshl_b64 s[30:31], s[2:3], 3
	s_add_u32 s57, s24, s30
	s_mul_i32 s2, s34, s13
	s_mul_hi_u32 s3, s34, s12
	s_addc_u32 s58, s25, s31
	s_add_i32 s2, s3, s2
	s_mul_i32 s3, s35, s12
	s_add_i32 s3, s2, s3
	s_mul_i32 s2, s34, s12
	s_lshl_b64 s[2:3], s[2:3], 2
	s_add_u32 s54, s10, s2
	s_addc_u32 s55, s11, s3
	s_add_i32 s56, s22, -1
	s_cmp_lt_i32 s56, 0
	v_lshlrev_b32_e32 v18, 3, v0
	v_add_u32_e32 v1, 1, v0
	s_mov_b32 s6, s23
	s_mov_b32 s36, s56
	s_cbranch_scc1 .LBB3_213
; %bb.3:
	s_sub_i32 s59, s23, s22
	s_add_i32 s79, s23, -1
	s_sub_i32 s60, s22, s23
	s_cmp_eq_u32 s23, s22
	s_cselect_b64 s[6:7], -1, 0
	s_add_i32 s61, s21, 1
	s_lshl_b32 s62, s22, 1
	s_add_u32 s63, s20, 8
	s_addc_u32 s64, s33, 0
	s_add_u32 s65, s57, 8
	s_addc_u32 s66, s58, 0
	s_add_u32 s67, s57, -8
	s_addc_u32 s68, s58, -1
	s_add_u32 s69, s20, -8
	s_addc_u32 s70, s33, -1
	s_add_u32 s71, s24, s30
	s_addc_u32 s72, s25, s31
	s_add_u32 s8, s26, s28
	s_addc_u32 s9, s27, s29
	;; [unrolled: 2-line block ×3, first 2 shown]
	v_mov_b32_e32 v20, s74
	v_add_co_u32_e32 v21, vcc, s73, v18
	v_addc_co_u32_e32 v22, vcc, 0, v20, vcc
	v_mov_b32_e32 v2, 0x800
	s_ashr_i32 s9, s22, 31
	s_mov_b32 s8, s22
	v_mov_b32_e32 v23, s72
	v_add_co_u32_e32 v24, vcc, s71, v18
	v_lshl_or_b32 v19, v0, 2, v2
	s_lshl_b64 s[38:39], s[8:9], 3
	s_ashr_i32 s9, s21, 31
	s_mov_b32 s8, s21
	v_addc_co_u32_e32 v25, vcc, 0, v23, vcc
	v_add_u32_e32 v2, s23, v0
	s_movk_i32 s2, 0x80
	s_lshl_b64 s[40:41], s[8:9], 3
	v_add_co_u32_e32 v26, vcc, 8, v24
	v_subrev_u32_e32 v2, s22, v2
	s_mov_b32 s42, 0x66afed07
	v_cmp_gt_u32_e64 s[2:3], s2, v0
	v_cmp_gt_u32_e64 s[4:5], 64, v0
	v_mov_b32_e32 v7, 0
	s_lshl_b32 s75, s21, 8
	v_addc_co_u32_e32 v27, vcc, 0, v25, vcc
	v_add_u32_e32 v28, 1, v2
	s_lshl_b32 s76, s22, 8
	s_mov_b32 s37, 0
	v_mov_b32_e32 v29, s41
	s_brev_b32 s77, -2
	s_mov_b32 s43, 0x3fe47e0f
	s_xor_b64 s[44:45], s[6:7], -1
	s_movk_i32 s78, 0x800
	s_mov_b32 s36, s56
	s_branch .LBB3_5
.LBB3_4:                                ;   in Loop: Header=BB3_5 Depth=1
	s_or_b64 exec, exec, s[6:7]
	s_add_i32 s36, s12, s36
	s_add_i32 s79, s36, s59
	s_cmp_lt_i32 s36, 0
	s_cselect_b64 s[6:7], -1, 0
	s_and_b64 vcc, exec, s[6:7]
	s_cbranch_vccnz .LBB3_212
.LBB3_5:                                ; =>This Loop Header: Depth=1
                                        ;     Child Loop BB3_8 Depth 2
                                        ;     Child Loop BB3_15 Depth 2
                                        ;       Child Loop BB3_17 Depth 3
                                        ;     Child Loop BB3_22 Depth 2
                                        ;     Child Loop BB3_65 Depth 2
	;; [unrolled: 1-line block ×4, first 2 shown]
                                        ;       Child Loop BB3_77 Depth 3
                                        ;     Child Loop BB3_82 Depth 2
                                        ;     Child Loop BB3_124 Depth 2
	;; [unrolled: 1-line block ×9, first 2 shown]
	s_cmp_le_i32 s36, s60
	s_cselect_b64 s[6:7], -1, 0
	s_and_b64 s[6:7], s[44:45], s[6:7]
	s_and_b64 vcc, exec, s[6:7]
	s_cbranch_vccnz .LBB3_18
; %bb.6:                                ;   in Loop: Header=BB3_5 Depth=1
	v_cmp_ge_i32_e64 s[8:9], s36, v0
	s_and_saveexec_b64 s[6:7], s[8:9]
	s_cbranch_execz .LBB3_9
; %bb.7:                                ;   in Loop: Header=BB3_5 Depth=1
	s_mul_i32 s11, s79, s22
	s_waitcnt vmcnt(0)
	v_add_u32_e32 v2, s11, v0
	s_mul_i32 s10, s36, s21
	v_ashrrev_i32_e32 v3, 31, v2
	v_lshlrev_b64 v[2:3], 3, v[2:3]
	v_add_u32_e32 v4, s10, v0
	v_add_co_u32_e32 v2, vcc, s71, v2
	v_ashrrev_i32_e32 v5, 31, v4
	v_addc_co_u32_e32 v3, vcc, v23, v3, vcc
	v_lshlrev_b64 v[4:5], 3, v[4:5]
	v_add_co_u32_e32 v4, vcc, s73, v4
	v_addc_co_u32_e32 v5, vcc, v20, v5, vcc
	s_mov_b64 s[10:11], 0
	v_mov_b32_e32 v6, v0
.LBB3_8:                                ;   Parent Loop BB3_5 Depth=1
                                        ; =>  This Inner Loop Header: Depth=2
	global_load_dwordx2 v[8:9], v[4:5], off
	v_add_u32_e32 v6, 0x100, v6
	v_cmp_lt_i32_e32 vcc, s36, v6
	s_or_b64 s[10:11], vcc, s[10:11]
	s_waitcnt vmcnt(0)
	global_store_dwordx2 v[2:3], v[8:9], off
	v_add_co_u32_e32 v2, vcc, 0x800, v2
	v_addc_co_u32_e32 v3, vcc, 0, v3, vcc
	v_add_co_u32_e32 v4, vcc, 0x800, v4
	v_addc_co_u32_e32 v5, vcc, 0, v5, vcc
	s_andn2_b64 exec, exec, s[10:11]
	s_cbranch_execnz .LBB3_8
.LBB3_9:                                ;   in Loop: Header=BB3_5 Depth=1
	s_or_b64 exec, exec, s[6:7]
	s_cmp_ge_i32 s36, s56
	s_cselect_b64 s[48:49], -1, 0
	s_cmp_lt_i32 s36, s56
	s_mov_b64 s[6:7], -1
	s_barrier
	s_waitcnt lgkmcnt(0)
                                        ; implicit-def: $sgpr46
	s_cbranch_scc1 .LBB3_11
; %bb.10:                               ;   in Loop: Header=BB3_5 Depth=1
	s_mul_i32 s46, s79, s22
	s_ashr_i32 s47, s46, 31
	s_mov_b64 s[6:7], 0
.LBB3_11:                               ;   in Loop: Header=BB3_5 Depth=1
	s_andn2_b64 vcc, exec, s[6:7]
	s_cbranch_vccnz .LBB3_20
; %bb.12:                               ;   in Loop: Header=BB3_5 Depth=1
	s_mul_i32 s46, s79, s22
	s_ashr_i32 s47, s46, 31
	s_and_saveexec_b64 s[10:11], s[8:9]
	s_cbranch_execz .LBB3_19
; %bb.13:                               ;   in Loop: Header=BB3_5 Depth=1
	s_add_i32 s6, s36, 1
	s_not_b32 s80, s36
	s_mul_i32 s6, s6, s21
	s_add_i32 s80, s80, s22
	s_ashr_i32 s7, s6, 31
	s_lshl_b64 s[12:13], s[36:37], 3
	s_add_u32 s50, s57, s12
	s_addc_u32 s51, s58, s13
	s_add_i32 s12, s79, 1
	s_mul_i32 s12, s12, s22
	s_ashr_i32 s13, s12, 31
	s_lshl_b64 s[12:13], s[12:13], 3
	s_add_u32 s12, s50, s12
	s_addc_u32 s13, s51, s13
	s_lshl_b64 s[50:51], s[46:47], 3
	s_add_u32 s81, s57, s50
	s_addc_u32 s82, s58, s51
	s_cmp_gt_i32 s80, 0
	s_cselect_b64 s[50:51], -1, 0
	s_lshl_b64 s[6:7], s[6:7], 3
	s_waitcnt vmcnt(0)
	v_mov_b32_e32 v3, s7
	v_add_co_u32_e32 v2, vcc, s6, v21
	v_addc_co_u32_e32 v3, vcc, v22, v3, vcc
	s_mov_b64 s[52:53], 0
	v_mov_b32_e32 v10, s82
	v_mov_b32_e32 v6, v0
	s_branch .LBB3_15
.LBB3_14:                               ;   in Loop: Header=BB3_15 Depth=2
	v_lshlrev_b64 v[8:9], 3, v[6:7]
	v_add_co_u32_e32 v8, vcc, s81, v8
	v_addc_co_u32_e32 v9, vcc, v10, v9, vcc
	global_load_dwordx2 v[12:13], v[8:9], off
	v_add_u32_e32 v6, 0x100, v6
	v_add_co_u32_e32 v2, vcc, 0x800, v2
	v_cmp_lt_i32_e64 s[6:7], s36, v6
	s_or_b64 s[52:53], s[6:7], s[52:53]
	v_addc_co_u32_e32 v3, vcc, 0, v3, vcc
	s_waitcnt vmcnt(0)
	v_add_f64 v[4:5], v[12:13], -v[4:5]
	global_store_dwordx2 v[8:9], v[4:5], off
	s_andn2_b64 exec, exec, s[52:53]
	s_cbranch_execz .LBB3_19
.LBB3_15:                               ;   Parent Loop BB3_5 Depth=1
                                        ; =>  This Loop Header: Depth=2
                                        ;       Child Loop BB3_17 Depth 3
	v_pk_mov_b32 v[4:5], 0, 0
	s_andn2_b64 vcc, exec, s[50:51]
	s_cbranch_vccnz .LBB3_14
; %bb.16:                               ;   in Loop: Header=BB3_15 Depth=2
	v_pk_mov_b32 v[8:9], v[2:3], v[2:3] op_sel:[0,1]
	s_mov_b64 s[6:7], s[12:13]
	s_mov_b32 s82, s80
.LBB3_17:                               ;   Parent Loop BB3_5 Depth=1
                                        ;     Parent Loop BB3_15 Depth=2
                                        ; =>    This Inner Loop Header: Depth=3
	global_load_dwordx2 v[12:13], v[8:9], off
	global_load_dwordx2 v[14:15], v7, s[6:7]
	s_add_i32 s82, s82, -1
	s_add_u32 s6, s6, s38
	v_add_co_u32_e32 v8, vcc, s40, v8
	s_addc_u32 s7, s7, s39
	v_addc_co_u32_e32 v9, vcc, v9, v29, vcc
	s_cmp_eq_u32 s82, 0
	s_waitcnt vmcnt(0)
	v_fmac_f64_e32 v[4:5], v[12:13], v[14:15]
	s_cbranch_scc0 .LBB3_17
	s_branch .LBB3_14
.LBB3_18:                               ;   in Loop: Header=BB3_5 Depth=1
	s_cbranch_execz .LBB3_5
	s_branch .LBB3_212
.LBB3_19:                               ;   in Loop: Header=BB3_5 Depth=1
	s_or_b64 exec, exec, s[10:11]
	s_barrier
.LBB3_20:                               ;   in Loop: Header=BB3_5 Depth=1
	v_cmp_gt_i32_e64 s[6:7], s36, v0
	v_bfrev_b32_e32 v6, -2
	s_waitcnt vmcnt(0)
	v_pk_mov_b32 v[2:3], 0, 0
	s_and_saveexec_b64 s[12:13], s[6:7]
	s_cbranch_execz .LBB3_24
; %bb.21:                               ;   in Loop: Header=BB3_5 Depth=1
	s_lshl_b64 s[10:11], s[46:47], 3
	v_mov_b32_e32 v2, s11
	v_add_co_u32_e32 v4, vcc, s10, v24
	v_addc_co_u32_e32 v5, vcc, v25, v2, vcc
	s_mov_b64 s[50:51], 0
	v_bfrev_b32_e32 v6, -2
	v_pk_mov_b32 v[2:3], 0, 0
	v_mov_b32_e32 v8, v0
.LBB3_22:                               ;   Parent Loop BB3_5 Depth=1
                                        ; =>  This Inner Loop Header: Depth=2
	global_load_dwordx2 v[10:11], v[4:5], off
	v_add_co_u32_e32 v4, vcc, 0x800, v4
	v_cmp_eq_u32_e64 s[10:11], s77, v6
	v_add_u32_e32 v9, 1, v8
	v_add_u32_e32 v8, 0x100, v8
	v_addc_co_u32_e32 v5, vcc, 0, v5, vcc
	v_cmp_le_i32_e32 vcc, s36, v8
	s_waitcnt vmcnt(0)
	v_cmp_lt_f64_e64 s[52:53], v[2:3], |v[10:11]|
	v_and_b32_e32 v12, 0x7fffffff, v11
	s_or_b64 s[10:11], s[52:53], s[10:11]
	v_cndmask_b32_e64 v3, v3, v12, s[10:11]
	v_cndmask_b32_e64 v2, v2, v10, s[10:11]
	s_or_b64 s[50:51], vcc, s[50:51]
	v_cndmask_b32_e64 v6, v6, v9, s[10:11]
	s_andn2_b64 exec, exec, s[50:51]
	s_cbranch_execnz .LBB3_22
; %bb.23:                               ;   in Loop: Header=BB3_5 Depth=1
	s_or_b64 exec, exec, s[50:51]
.LBB3_24:                               ;   in Loop: Header=BB3_5 Depth=1
	s_or_b64 exec, exec, s[12:13]
	s_cmp_lt_i32 s36, 2
	ds_write_b64 v18, v[2:3]
	ds_write_b32 v19, v6
	s_waitcnt lgkmcnt(0)
	s_barrier
	s_cbranch_scc1 .LBB3_59
; %bb.25:                               ;   in Loop: Header=BB3_5 Depth=1
	s_and_saveexec_b64 s[12:13], s[2:3]
	s_cbranch_execz .LBB3_31
; %bb.26:                               ;   in Loop: Header=BB3_5 Depth=1
	ds_read_b64 v[4:5], v18 offset:1024
	ds_read_b32 v8, v19 offset:512
	s_waitcnt lgkmcnt(1)
	v_cmp_lt_f64_e64 s[50:51], v[2:3], v[4:5]
	v_cmp_nlt_f64_e32 vcc, v[2:3], v[4:5]
	s_and_saveexec_b64 s[52:53], vcc
	s_cbranch_execz .LBB3_28
; %bb.27:                               ;   in Loop: Header=BB3_5 Depth=1
	v_cmp_eq_f64_e32 vcc, v[2:3], v[4:5]
	s_waitcnt lgkmcnt(0)
	v_cmp_gt_i32_e64 s[10:11], v6, v8
	s_and_b64 s[10:11], vcc, s[10:11]
	s_andn2_b64 s[50:51], s[50:51], exec
	s_and_b64 s[10:11], s[10:11], exec
	s_or_b64 s[50:51], s[50:51], s[10:11]
.LBB3_28:                               ;   in Loop: Header=BB3_5 Depth=1
	s_or_b64 exec, exec, s[52:53]
	s_and_saveexec_b64 s[10:11], s[50:51]
	s_cbranch_execz .LBB3_30
; %bb.29:                               ;   in Loop: Header=BB3_5 Depth=1
	s_waitcnt lgkmcnt(0)
	v_mov_b32_e32 v6, v8
	v_pk_mov_b32 v[2:3], v[4:5], v[4:5] op_sel:[0,1]
	ds_write_b64 v18, v[4:5]
	ds_write_b32 v19, v8
.LBB3_30:                               ;   in Loop: Header=BB3_5 Depth=1
	s_or_b64 exec, exec, s[10:11]
.LBB3_31:                               ;   in Loop: Header=BB3_5 Depth=1
	s_or_b64 exec, exec, s[12:13]
	s_waitcnt lgkmcnt(0)
	s_barrier
	s_and_saveexec_b64 s[50:51], s[4:5]
	s_cbranch_execz .LBB3_58
; %bb.32:                               ;   in Loop: Header=BB3_5 Depth=1
	ds_read_b64 v[4:5], v18 offset:512
	ds_read_b32 v8, v19 offset:256
	s_waitcnt lgkmcnt(1)
	v_cmp_lt_f64_e64 s[12:13], v[2:3], v[4:5]
	v_cmp_nlt_f64_e32 vcc, v[2:3], v[4:5]
	s_and_saveexec_b64 s[52:53], vcc
	s_cbranch_execz .LBB3_34
; %bb.33:                               ;   in Loop: Header=BB3_5 Depth=1
	v_cmp_eq_f64_e32 vcc, v[2:3], v[4:5]
	s_waitcnt lgkmcnt(0)
	v_cmp_gt_i32_e64 s[10:11], v6, v8
	s_and_b64 s[10:11], vcc, s[10:11]
	s_andn2_b64 s[12:13], s[12:13], exec
	s_and_b64 s[10:11], s[10:11], exec
	s_or_b64 s[12:13], s[12:13], s[10:11]
.LBB3_34:                               ;   in Loop: Header=BB3_5 Depth=1
	s_or_b64 exec, exec, s[52:53]
	s_and_saveexec_b64 s[10:11], s[12:13]
	s_cbranch_execz .LBB3_36
; %bb.35:                               ;   in Loop: Header=BB3_5 Depth=1
	v_pk_mov_b32 v[2:3], v[4:5], v[4:5] op_sel:[0,1]
	s_waitcnt lgkmcnt(0)
	v_mov_b32_e32 v6, v8
	ds_write_b64 v18, v[4:5]
	ds_write_b32 v19, v8
.LBB3_36:                               ;   in Loop: Header=BB3_5 Depth=1
	s_or_b64 exec, exec, s[10:11]
	ds_read_b64 v[4:5], v18 offset:256
	s_waitcnt lgkmcnt(1)
	ds_read_b32 v8, v19 offset:128
	s_waitcnt lgkmcnt(1)
	v_cmp_lt_f64_e64 s[12:13], v[2:3], v[4:5]
	v_cmp_nlt_f64_e32 vcc, v[2:3], v[4:5]
	s_and_saveexec_b64 s[52:53], vcc
	s_cbranch_execz .LBB3_38
; %bb.37:                               ;   in Loop: Header=BB3_5 Depth=1
	v_cmp_eq_f64_e32 vcc, v[2:3], v[4:5]
	s_waitcnt lgkmcnt(0)
	v_cmp_gt_i32_e64 s[10:11], v6, v8
	s_and_b64 s[10:11], vcc, s[10:11]
	s_andn2_b64 s[12:13], s[12:13], exec
	s_and_b64 s[10:11], s[10:11], exec
	s_or_b64 s[12:13], s[12:13], s[10:11]
.LBB3_38:                               ;   in Loop: Header=BB3_5 Depth=1
	s_or_b64 exec, exec, s[52:53]
	s_and_saveexec_b64 s[10:11], s[12:13]
	s_cbranch_execz .LBB3_40
; %bb.39:                               ;   in Loop: Header=BB3_5 Depth=1
	v_pk_mov_b32 v[2:3], v[4:5], v[4:5] op_sel:[0,1]
	s_waitcnt lgkmcnt(0)
	v_mov_b32_e32 v6, v8
	ds_write_b64 v18, v[4:5]
	ds_write_b32 v19, v8
.LBB3_40:                               ;   in Loop: Header=BB3_5 Depth=1
	s_or_b64 exec, exec, s[10:11]
	ds_read_b64 v[4:5], v18 offset:128
	s_waitcnt lgkmcnt(1)
	;; [unrolled: 28-line block ×6, first 2 shown]
	ds_read_b32 v8, v19 offset:4
	s_waitcnt lgkmcnt(1)
	v_cmp_eq_f64_e64 s[10:11], v[2:3], v[4:5]
	s_waitcnt lgkmcnt(0)
	v_cmp_gt_i32_e64 s[12:13], v6, v8
	v_cmp_lt_f64_e32 vcc, v[2:3], v[4:5]
	s_and_b64 s[10:11], s[10:11], s[12:13]
	s_or_b64 s[10:11], vcc, s[10:11]
	s_and_b64 exec, exec, s[10:11]
	s_cbranch_execz .LBB3_58
; %bb.57:                               ;   in Loop: Header=BB3_5 Depth=1
	ds_write_b64 v18, v[4:5]
	ds_write_b32 v19, v8
.LBB3_58:                               ;   in Loop: Header=BB3_5 Depth=1
	s_or_b64 exec, exec, s[50:51]
.LBB3_59:                               ;   in Loop: Header=BB3_5 Depth=1
	s_and_saveexec_b64 s[10:11], s[0:1]
	s_cbranch_execz .LBB3_61
; %bb.60:                               ;   in Loop: Header=BB3_5 Depth=1
	s_add_i32 s12, s46, s36
	s_ashr_i32 s13, s12, 31
	s_lshl_b64 s[12:13], s[12:13], 3
	s_add_u32 s12, s57, s12
	s_addc_u32 s13, s58, s13
	global_load_dwordx2 v[2:3], v7, s[12:13]
	ds_read_b32 v6, v7 offset:2048
	ds_read_b64 v[4:5], v7
	s_waitcnt lgkmcnt(1)
	v_add_u32_e32 v6, -1, v6
	ds_write_b32 v7, v6 offset:3096
	s_waitcnt vmcnt(0)
	v_and_b32_e32 v3, 0x7fffffff, v3
	s_waitcnt lgkmcnt(1)
	ds_write_b128 v7, v[2:5] offset:3072
.LBB3_61:                               ;   in Loop: Header=BB3_5 Depth=1
	s_or_b64 exec, exec, s[10:11]
	s_waitcnt lgkmcnt(0)
	s_barrier
	ds_read_b128 v[2:5], v7 offset:3072
	s_waitcnt lgkmcnt(0)
	v_cmp_lt_f64_e32 vcc, v[2:3], v[4:5]
	v_cndmask_b32_e32 v9, v3, v5, vcc
	v_cndmask_b32_e32 v8, v2, v4, vcc
	v_cmp_neq_f64_e32 vcc, 0, v[8:9]
	s_cbranch_vccz .LBB3_78
; %bb.62:                               ;   in Loop: Header=BB3_5 Depth=1
	v_mul_f64 v[4:5], v[4:5], s[42:43]
	v_cmp_ge_f64_e32 vcc, v[2:3], v[4:5]
	s_cbranch_vccnz .LBB3_170
; %bb.63:                               ;   in Loop: Header=BB3_5 Depth=1
	ds_read_b32 v2, v7 offset:3096
	s_waitcnt lgkmcnt(0)
	v_readfirstlane_b32 s47, v2
	v_cmp_ge_i32_e32 vcc, v2, v0
	s_and_saveexec_b64 s[10:11], vcc
	s_cbranch_execz .LBB3_66
; %bb.64:                               ;   in Loop: Header=BB3_5 Depth=1
	s_add_i32 s13, s79, -1
	s_mul_i32 s13, s13, s22
	v_add_u32_e32 v2, s13, v0
	v_ashrrev_i32_e32 v3, 31, v2
	v_lshlrev_b64 v[2:3], 3, v[2:3]
	s_mul_i32 s12, s47, s21
	v_mov_b32_e32 v4, s72
	v_add_co_u32_e32 v2, vcc, s71, v2
	v_addc_co_u32_e32 v3, vcc, v4, v3, vcc
	v_add_u32_e32 v4, s12, v0
	v_ashrrev_i32_e32 v5, 31, v4
	v_lshlrev_b64 v[4:5], 3, v[4:5]
	v_mov_b32_e32 v6, s74
	v_add_co_u32_e32 v4, vcc, s73, v4
	v_addc_co_u32_e32 v5, vcc, v6, v5, vcc
	s_mov_b64 s[12:13], 0
	v_mov_b32_e32 v6, v0
.LBB3_65:                               ;   Parent Loop BB3_5 Depth=1
                                        ; =>  This Inner Loop Header: Depth=2
	global_load_dwordx2 v[8:9], v[4:5], off
	v_add_u32_e32 v6, 0x100, v6
	v_cmp_lt_i32_e32 vcc, s47, v6
	s_or_b64 s[12:13], vcc, s[12:13]
	s_waitcnt vmcnt(0)
	global_store_dwordx2 v[2:3], v[8:9], off
	v_add_co_u32_e32 v2, vcc, 0x800, v2
	v_addc_co_u32_e32 v3, vcc, 0, v3, vcc
	v_add_co_u32_e32 v4, vcc, 0x800, v4
	v_addc_co_u32_e32 v5, vcc, 0, v5, vcc
	s_andn2_b64 exec, exec, s[12:13]
	s_cbranch_execnz .LBB3_65
.LBB3_66:                               ;   in Loop: Header=BB3_5 Depth=1
	s_or_b64 exec, exec, s[10:11]
	s_sub_i32 s50, s36, s47
	v_cmp_gt_i32_e32 vcc, s50, v0
	s_and_saveexec_b64 s[10:11], vcc
	s_cbranch_execz .LBB3_69
; %bb.67:                               ;   in Loop: Header=BB3_5 Depth=1
	s_add_i32 s12, s79, -1
	s_mul_i32 s12, s12, s22
	v_add_u32_e32 v2, s47, v1
	s_add_i32 s51, s47, s12
	v_mul_lo_u32 v2, s21, v2
	s_add_i32 s51, s51, 1
	v_add_u32_e32 v2, s47, v2
	s_mov_b64 s[12:13], 0
	v_mov_b32_e32 v4, v0
.LBB3_68:                               ;   Parent Loop BB3_5 Depth=1
                                        ; =>  This Inner Loop Header: Depth=2
	v_ashrrev_i32_e32 v3, 31, v2
	v_lshlrev_b64 v[8:9], 3, v[2:3]
	v_mov_b32_e32 v5, s33
	v_add_co_u32_e32 v8, vcc, s20, v8
	v_addc_co_u32_e32 v9, vcc, v5, v9, vcc
	global_load_dwordx2 v[8:9], v[8:9], off
	v_add_u32_e32 v10, s51, v4
	v_add_u32_e32 v4, 0x100, v4
	v_ashrrev_i32_e32 v11, 31, v10
	v_cmp_le_i32_e32 vcc, s50, v4
	v_lshlrev_b64 v[10:11], 3, v[10:11]
	v_mov_b32_e32 v3, s58
	s_or_b64 s[12:13], vcc, s[12:13]
	v_add_co_u32_e32 v10, vcc, s57, v10
	v_add_u32_e32 v2, s75, v2
	v_addc_co_u32_e32 v11, vcc, v3, v11, vcc
	s_waitcnt vmcnt(0)
	global_store_dwordx2 v[10:11], v[8:9], off
	s_andn2_b64 exec, exec, s[12:13]
	s_cbranch_execnz .LBB3_68
.LBB3_69:                               ;   in Loop: Header=BB3_5 Depth=1
	s_or_b64 exec, exec, s[10:11]
	s_andn2_b64 vcc, exec, s[48:49]
	s_mov_b64 s[10:11], -1
	s_barrier
	s_waitcnt lgkmcnt(0)
                                        ; implicit-def: $sgpr48
	s_cbranch_vccnz .LBB3_71
; %bb.70:                               ;   in Loop: Header=BB3_5 Depth=1
	s_add_i32 s10, s79, -1
	s_mul_i32 s48, s10, s22
	s_ashr_i32 s49, s48, 31
	s_mov_b64 s[10:11], 0
.LBB3_71:                               ;   in Loop: Header=BB3_5 Depth=1
	s_andn2_b64 vcc, exec, s[10:11]
	s_cbranch_vccnz .LBB3_80
; %bb.72:                               ;   in Loop: Header=BB3_5 Depth=1
	s_add_i32 s10, s79, 1
	s_mul_i32 s10, s10, s22
	s_sub_i32 s48, s10, s62
	s_ashr_i32 s49, s48, 31
	s_and_saveexec_b64 s[12:13], s[8:9]
	s_cbranch_execz .LBB3_79
; %bb.73:                               ;   in Loop: Header=BB3_5 Depth=1
	ds_read_b32 v2, v7 offset:3096
	s_add_i32 s11, s36, 1
	s_mul_i32 s52, s11, s21
	v_mov_b32_e32 v4, s58
	s_ashr_i32 s11, s10, 31
	s_waitcnt lgkmcnt(0)
	v_ashrrev_i32_e32 v3, 31, v2
	v_lshlrev_b64 v[2:3], 3, v[2:3]
	v_add_co_u32_e32 v2, vcc, s57, v2
	s_not_b32 s47, s36
	v_addc_co_u32_e32 v3, vcc, v4, v3, vcc
	s_lshl_b64 s[10:11], s[10:11], 3
	s_add_i32 s47, s47, s22
	s_ashr_i32 s53, s52, 31
	v_mov_b32_e32 v4, s11
	v_add_co_u32_e32 v2, vcc, s10, v2
	s_lshl_b64 s[10:11], s[48:49], 3
	s_add_u32 s80, s57, s10
	s_addc_u32 s81, s58, s11
	s_cmp_gt_i32 s47, 0
	v_addc_co_u32_e32 v3, vcc, v3, v4, vcc
	s_cselect_b64 s[50:51], -1, 0
	s_lshl_b64 s[10:11], s[52:53], 3
	v_mov_b32_e32 v5, s11
	v_add_co_u32_e32 v4, vcc, s10, v21
	v_addc_co_u32_e32 v5, vcc, v22, v5, vcc
	s_mov_b64 s[52:53], 0
	v_mov_b32_e32 v6, v0
	s_branch .LBB3_75
.LBB3_74:                               ;   in Loop: Header=BB3_75 Depth=2
	v_lshlrev_b64 v[10:11], 3, v[6:7]
	v_mov_b32_e32 v12, s81
	v_add_co_u32_e32 v10, vcc, s80, v10
	v_addc_co_u32_e32 v11, vcc, v12, v11, vcc
	global_load_dwordx2 v[12:13], v[10:11], off
	v_add_u32_e32 v6, 0x100, v6
	v_add_co_u32_e32 v4, vcc, 0x800, v4
	v_cmp_lt_i32_e64 s[10:11], s36, v6
	s_or_b64 s[52:53], s[10:11], s[52:53]
	v_addc_co_u32_e32 v5, vcc, 0, v5, vcc
	s_waitcnt vmcnt(0)
	v_add_f64 v[8:9], v[12:13], -v[8:9]
	global_store_dwordx2 v[10:11], v[8:9], off
	s_andn2_b64 exec, exec, s[52:53]
	s_cbranch_execz .LBB3_79
.LBB3_75:                               ;   Parent Loop BB3_5 Depth=1
                                        ; =>  This Loop Header: Depth=2
                                        ;       Child Loop BB3_77 Depth 3
	v_pk_mov_b32 v[8:9], 0, 0
	s_andn2_b64 vcc, exec, s[50:51]
	s_cbranch_vccnz .LBB3_74
; %bb.76:                               ;   in Loop: Header=BB3_75 Depth=2
	v_pk_mov_b32 v[10:11], v[4:5], v[4:5] op_sel:[0,1]
	v_pk_mov_b32 v[12:13], v[2:3], v[2:3] op_sel:[0,1]
	s_mov_b32 s82, s47
.LBB3_77:                               ;   Parent Loop BB3_5 Depth=1
                                        ;     Parent Loop BB3_75 Depth=2
                                        ; =>    This Inner Loop Header: Depth=3
	global_load_dwordx2 v[14:15], v[10:11], off
	global_load_dwordx2 v[16:17], v[12:13], off
	s_add_i32 s82, s82, -1
	v_mov_b32_e32 v30, s39
	v_mov_b32_e32 v31, s41
	v_add_co_u32_e32 v10, vcc, s40, v10
	v_add_co_u32_e64 v12, s[10:11], s38, v12
	v_addc_co_u32_e64 v13, s[10:11], v13, v30, s[10:11]
	v_addc_co_u32_e32 v11, vcc, v11, v31, vcc
	s_cmp_eq_u32 s82, 0
	s_waitcnt vmcnt(0)
	v_fmac_f64_e32 v[8:9], v[14:15], v[16:17]
	s_cbranch_scc0 .LBB3_77
	s_branch .LBB3_74
.LBB3_78:                               ;   in Loop: Header=BB3_5 Depth=1
                                        ; implicit-def: $sgpr47
                                        ; implicit-def: $sgpr12
                                        ; implicit-def: $sgpr8_sgpr9
	s_cbranch_execz .LBB3_189
	s_branch .LBB3_204
.LBB3_79:                               ;   in Loop: Header=BB3_5 Depth=1
	s_or_b64 exec, exec, s[12:13]
	s_barrier
.LBB3_80:                               ;   in Loop: Header=BB3_5 Depth=1
	ds_read_b32 v4, v7 offset:3096
	v_bfrev_b32_e32 v6, -2
	v_pk_mov_b32 v[2:3], 0, 0
	s_waitcnt lgkmcnt(0)
	v_sub_u32_e32 v8, s36, v4
	v_cmp_gt_i32_e32 vcc, v8, v0
	s_and_saveexec_b64 s[12:13], vcc
	s_cbranch_execz .LBB3_84
; %bb.81:                               ;   in Loop: Header=BB3_5 Depth=1
	v_ashrrev_i32_e32 v5, 31, v4
	s_lshl_b64 s[10:11], s[48:49], 3
	v_lshlrev_b64 v[2:3], 3, v[4:5]
	v_mov_b32_e32 v4, s11
	v_add_co_u32_e32 v2, vcc, s10, v2
	v_addc_co_u32_e32 v3, vcc, v4, v3, vcc
	v_add_co_u32_e32 v4, vcc, v26, v2
	v_addc_co_u32_e32 v5, vcc, v27, v3, vcc
	s_mov_b64 s[50:51], 0
	v_bfrev_b32_e32 v6, -2
	v_pk_mov_b32 v[2:3], 0, 0
	v_mov_b32_e32 v9, v0
.LBB3_82:                               ;   Parent Loop BB3_5 Depth=1
                                        ; =>  This Inner Loop Header: Depth=2
	global_load_dwordx2 v[10:11], v[4:5], off
	v_add_co_u32_e32 v4, vcc, 0x800, v4
	v_cmp_eq_u32_e64 s[10:11], s77, v6
	v_add_u32_e32 v12, 1, v9
	v_add_u32_e32 v9, 0x100, v9
	v_addc_co_u32_e32 v5, vcc, 0, v5, vcc
	v_cmp_ge_i32_e32 vcc, v9, v8
	s_waitcnt vmcnt(0)
	v_cmp_lt_f64_e64 s[52:53], v[2:3], |v[10:11]|
	v_and_b32_e32 v13, 0x7fffffff, v11
	s_or_b64 s[10:11], s[52:53], s[10:11]
	v_cndmask_b32_e64 v3, v3, v13, s[10:11]
	v_cndmask_b32_e64 v2, v2, v10, s[10:11]
	s_or_b64 s[50:51], vcc, s[50:51]
	v_cndmask_b32_e64 v6, v6, v12, s[10:11]
	s_andn2_b64 exec, exec, s[50:51]
	s_cbranch_execnz .LBB3_82
; %bb.83:                               ;   in Loop: Header=BB3_5 Depth=1
	s_or_b64 exec, exec, s[50:51]
.LBB3_84:                               ;   in Loop: Header=BB3_5 Depth=1
	s_or_b64 exec, exec, s[12:13]
	v_cmp_gt_i32_e32 vcc, 2, v8
	s_and_b64 vcc, exec, vcc
	ds_write_b64 v18, v[2:3]
	ds_write_b32 v19, v6
	s_waitcnt lgkmcnt(0)
	s_barrier
	s_cbranch_vccnz .LBB3_119
; %bb.85:                               ;   in Loop: Header=BB3_5 Depth=1
	s_and_saveexec_b64 s[12:13], s[2:3]
	s_cbranch_execz .LBB3_91
; %bb.86:                               ;   in Loop: Header=BB3_5 Depth=1
	ds_read_b64 v[4:5], v18 offset:1024
	ds_read_b32 v8, v19 offset:512
	s_waitcnt lgkmcnt(1)
	v_cmp_lt_f64_e64 s[50:51], v[2:3], v[4:5]
	v_cmp_nlt_f64_e32 vcc, v[2:3], v[4:5]
	s_and_saveexec_b64 s[52:53], vcc
	s_cbranch_execz .LBB3_88
; %bb.87:                               ;   in Loop: Header=BB3_5 Depth=1
	v_cmp_eq_f64_e32 vcc, v[2:3], v[4:5]
	s_waitcnt lgkmcnt(0)
	v_cmp_gt_i32_e64 s[10:11], v6, v8
	s_and_b64 s[10:11], vcc, s[10:11]
	s_andn2_b64 s[50:51], s[50:51], exec
	s_and_b64 s[10:11], s[10:11], exec
	s_or_b64 s[50:51], s[50:51], s[10:11]
.LBB3_88:                               ;   in Loop: Header=BB3_5 Depth=1
	s_or_b64 exec, exec, s[52:53]
	s_and_saveexec_b64 s[10:11], s[50:51]
	s_cbranch_execz .LBB3_90
; %bb.89:                               ;   in Loop: Header=BB3_5 Depth=1
	s_waitcnt lgkmcnt(0)
	v_mov_b32_e32 v6, v8
	v_pk_mov_b32 v[2:3], v[4:5], v[4:5] op_sel:[0,1]
	ds_write_b64 v18, v[4:5]
	ds_write_b32 v19, v8
.LBB3_90:                               ;   in Loop: Header=BB3_5 Depth=1
	s_or_b64 exec, exec, s[10:11]
.LBB3_91:                               ;   in Loop: Header=BB3_5 Depth=1
	s_or_b64 exec, exec, s[12:13]
	s_waitcnt lgkmcnt(0)
	s_barrier
	s_and_saveexec_b64 s[50:51], s[4:5]
	s_cbranch_execz .LBB3_118
; %bb.92:                               ;   in Loop: Header=BB3_5 Depth=1
	ds_read_b64 v[4:5], v18 offset:512
	ds_read_b32 v8, v19 offset:256
	s_waitcnt lgkmcnt(1)
	v_cmp_lt_f64_e64 s[12:13], v[2:3], v[4:5]
	v_cmp_nlt_f64_e32 vcc, v[2:3], v[4:5]
	s_and_saveexec_b64 s[52:53], vcc
	s_cbranch_execz .LBB3_94
; %bb.93:                               ;   in Loop: Header=BB3_5 Depth=1
	v_cmp_eq_f64_e32 vcc, v[2:3], v[4:5]
	s_waitcnt lgkmcnt(0)
	v_cmp_gt_i32_e64 s[10:11], v6, v8
	s_and_b64 s[10:11], vcc, s[10:11]
	s_andn2_b64 s[12:13], s[12:13], exec
	s_and_b64 s[10:11], s[10:11], exec
	s_or_b64 s[12:13], s[12:13], s[10:11]
.LBB3_94:                               ;   in Loop: Header=BB3_5 Depth=1
	s_or_b64 exec, exec, s[52:53]
	s_and_saveexec_b64 s[10:11], s[12:13]
	s_cbranch_execz .LBB3_96
; %bb.95:                               ;   in Loop: Header=BB3_5 Depth=1
	v_pk_mov_b32 v[2:3], v[4:5], v[4:5] op_sel:[0,1]
	s_waitcnt lgkmcnt(0)
	v_mov_b32_e32 v6, v8
	ds_write_b64 v18, v[4:5]
	ds_write_b32 v19, v8
.LBB3_96:                               ;   in Loop: Header=BB3_5 Depth=1
	s_or_b64 exec, exec, s[10:11]
	ds_read_b64 v[4:5], v18 offset:256
	s_waitcnt lgkmcnt(1)
	ds_read_b32 v8, v19 offset:128
	s_waitcnt lgkmcnt(1)
	v_cmp_lt_f64_e64 s[12:13], v[2:3], v[4:5]
	v_cmp_nlt_f64_e32 vcc, v[2:3], v[4:5]
	s_and_saveexec_b64 s[52:53], vcc
	s_cbranch_execz .LBB3_98
; %bb.97:                               ;   in Loop: Header=BB3_5 Depth=1
	v_cmp_eq_f64_e32 vcc, v[2:3], v[4:5]
	s_waitcnt lgkmcnt(0)
	v_cmp_gt_i32_e64 s[10:11], v6, v8
	s_and_b64 s[10:11], vcc, s[10:11]
	s_andn2_b64 s[12:13], s[12:13], exec
	s_and_b64 s[10:11], s[10:11], exec
	s_or_b64 s[12:13], s[12:13], s[10:11]
.LBB3_98:                               ;   in Loop: Header=BB3_5 Depth=1
	s_or_b64 exec, exec, s[52:53]
	s_and_saveexec_b64 s[10:11], s[12:13]
	s_cbranch_execz .LBB3_100
; %bb.99:                               ;   in Loop: Header=BB3_5 Depth=1
	v_pk_mov_b32 v[2:3], v[4:5], v[4:5] op_sel:[0,1]
	s_waitcnt lgkmcnt(0)
	v_mov_b32_e32 v6, v8
	ds_write_b64 v18, v[4:5]
	ds_write_b32 v19, v8
.LBB3_100:                              ;   in Loop: Header=BB3_5 Depth=1
	s_or_b64 exec, exec, s[10:11]
	ds_read_b64 v[4:5], v18 offset:128
	s_waitcnt lgkmcnt(1)
	ds_read_b32 v8, v19 offset:64
	s_waitcnt lgkmcnt(1)
	v_cmp_lt_f64_e64 s[12:13], v[2:3], v[4:5]
	v_cmp_nlt_f64_e32 vcc, v[2:3], v[4:5]
	s_and_saveexec_b64 s[52:53], vcc
	s_cbranch_execz .LBB3_102
; %bb.101:                              ;   in Loop: Header=BB3_5 Depth=1
	v_cmp_eq_f64_e32 vcc, v[2:3], v[4:5]
	s_waitcnt lgkmcnt(0)
	v_cmp_gt_i32_e64 s[10:11], v6, v8
	s_and_b64 s[10:11], vcc, s[10:11]
	s_andn2_b64 s[12:13], s[12:13], exec
	s_and_b64 s[10:11], s[10:11], exec
	s_or_b64 s[12:13], s[12:13], s[10:11]
.LBB3_102:                              ;   in Loop: Header=BB3_5 Depth=1
	s_or_b64 exec, exec, s[52:53]
	s_and_saveexec_b64 s[10:11], s[12:13]
	s_cbranch_execz .LBB3_104
; %bb.103:                              ;   in Loop: Header=BB3_5 Depth=1
	v_pk_mov_b32 v[2:3], v[4:5], v[4:5] op_sel:[0,1]
	s_waitcnt lgkmcnt(0)
	v_mov_b32_e32 v6, v8
	ds_write_b64 v18, v[4:5]
	ds_write_b32 v19, v8
.LBB3_104:                              ;   in Loop: Header=BB3_5 Depth=1
	s_or_b64 exec, exec, s[10:11]
	ds_read_b64 v[4:5], v18 offset:64
	s_waitcnt lgkmcnt(1)
	ds_read_b32 v8, v19 offset:32
	s_waitcnt lgkmcnt(1)
	v_cmp_lt_f64_e64 s[12:13], v[2:3], v[4:5]
	v_cmp_nlt_f64_e32 vcc, v[2:3], v[4:5]
	s_and_saveexec_b64 s[52:53], vcc
	s_cbranch_execz .LBB3_106
; %bb.105:                              ;   in Loop: Header=BB3_5 Depth=1
	v_cmp_eq_f64_e32 vcc, v[2:3], v[4:5]
	s_waitcnt lgkmcnt(0)
	v_cmp_gt_i32_e64 s[10:11], v6, v8
	s_and_b64 s[10:11], vcc, s[10:11]
	s_andn2_b64 s[12:13], s[12:13], exec
	s_and_b64 s[10:11], s[10:11], exec
	s_or_b64 s[12:13], s[12:13], s[10:11]
.LBB3_106:                              ;   in Loop: Header=BB3_5 Depth=1
	s_or_b64 exec, exec, s[52:53]
	s_and_saveexec_b64 s[10:11], s[12:13]
	s_cbranch_execz .LBB3_108
; %bb.107:                              ;   in Loop: Header=BB3_5 Depth=1
	v_pk_mov_b32 v[2:3], v[4:5], v[4:5] op_sel:[0,1]
	s_waitcnt lgkmcnt(0)
	v_mov_b32_e32 v6, v8
	ds_write_b64 v18, v[4:5]
	ds_write_b32 v19, v8
.LBB3_108:                              ;   in Loop: Header=BB3_5 Depth=1
	;; [unrolled: 28-line block ×4, first 2 shown]
	s_or_b64 exec, exec, s[10:11]
	ds_read_b64 v[4:5], v18 offset:8
	s_waitcnt lgkmcnt(1)
	ds_read_b32 v8, v19 offset:4
	s_waitcnt lgkmcnt(1)
	v_cmp_eq_f64_e64 s[10:11], v[2:3], v[4:5]
	s_waitcnt lgkmcnt(0)
	v_cmp_gt_i32_e64 s[12:13], v6, v8
	v_cmp_lt_f64_e32 vcc, v[2:3], v[4:5]
	s_and_b64 s[10:11], s[10:11], s[12:13]
	s_or_b64 s[10:11], vcc, s[10:11]
	s_and_b64 exec, exec, s[10:11]
	s_cbranch_execz .LBB3_118
; %bb.117:                              ;   in Loop: Header=BB3_5 Depth=1
	ds_write_b64 v18, v[4:5]
	ds_write_b32 v19, v8
.LBB3_118:                              ;   in Loop: Header=BB3_5 Depth=1
	s_or_b64 exec, exec, s[50:51]
.LBB3_119:                              ;   in Loop: Header=BB3_5 Depth=1
	s_and_saveexec_b64 s[10:11], s[0:1]
	s_cbranch_execz .LBB3_121
; %bb.120:                              ;   in Loop: Header=BB3_5 Depth=1
	ds_read_b64 v[2:3], v7
	s_waitcnt lgkmcnt(0)
	ds_write_b64 v7, v[2:3] offset:3088
.LBB3_121:                              ;   in Loop: Header=BB3_5 Depth=1
	s_or_b64 exec, exec, s[10:11]
	ds_read_b32 v8, v7 offset:3096
	s_waitcnt lgkmcnt(0)
	v_cmp_gt_i32_e32 vcc, 1, v8
	s_cbranch_vccnz .LBB3_164
; %bb.122:                              ;   in Loop: Header=BB3_5 Depth=1
	v_cmp_gt_i32_e32 vcc, v8, v0
	v_bfrev_b32_e32 v6, -2
	v_pk_mov_b32 v[2:3], 0, 0
	s_and_saveexec_b64 s[12:13], vcc
	s_cbranch_execz .LBB3_126
; %bb.123:                              ;   in Loop: Header=BB3_5 Depth=1
	s_lshl_b64 s[10:11], s[48:49], 3
	v_mov_b32_e32 v2, s11
	v_add_co_u32_e32 v4, vcc, s10, v24
	v_addc_co_u32_e32 v5, vcc, v25, v2, vcc
	s_mov_b64 s[50:51], 0
	v_bfrev_b32_e32 v6, -2
	v_pk_mov_b32 v[2:3], 0, 0
	v_mov_b32_e32 v9, v0
.LBB3_124:                              ;   Parent Loop BB3_5 Depth=1
                                        ; =>  This Inner Loop Header: Depth=2
	global_load_dwordx2 v[10:11], v[4:5], off
	v_add_co_u32_e32 v4, vcc, 0x800, v4
	v_cmp_eq_u32_e64 s[10:11], s77, v6
	v_add_u32_e32 v12, 1, v9
	v_add_u32_e32 v9, 0x100, v9
	v_addc_co_u32_e32 v5, vcc, 0, v5, vcc
	v_cmp_ge_i32_e32 vcc, v9, v8
	s_waitcnt vmcnt(0)
	v_cmp_lt_f64_e64 s[52:53], v[2:3], |v[10:11]|
	v_and_b32_e32 v13, 0x7fffffff, v11
	s_or_b64 s[10:11], s[52:53], s[10:11]
	v_cndmask_b32_e64 v3, v3, v13, s[10:11]
	v_cndmask_b32_e64 v2, v2, v10, s[10:11]
	s_or_b64 s[50:51], vcc, s[50:51]
	v_cndmask_b32_e64 v6, v6, v12, s[10:11]
	s_andn2_b64 exec, exec, s[50:51]
	s_cbranch_execnz .LBB3_124
; %bb.125:                              ;   in Loop: Header=BB3_5 Depth=1
	s_or_b64 exec, exec, s[50:51]
.LBB3_126:                              ;   in Loop: Header=BB3_5 Depth=1
	s_or_b64 exec, exec, s[12:13]
	v_cmp_eq_u32_e32 vcc, 1, v8
	s_and_b64 vcc, exec, vcc
	ds_write_b64 v18, v[2:3]
	ds_write_b32 v19, v6
	s_waitcnt lgkmcnt(0)
	s_barrier
	s_cbranch_vccnz .LBB3_161
; %bb.127:                              ;   in Loop: Header=BB3_5 Depth=1
	s_and_saveexec_b64 s[12:13], s[2:3]
	s_cbranch_execz .LBB3_133
; %bb.128:                              ;   in Loop: Header=BB3_5 Depth=1
	ds_read_b64 v[4:5], v18 offset:1024
	ds_read_b32 v8, v19 offset:512
	s_waitcnt lgkmcnt(1)
	v_cmp_lt_f64_e64 s[50:51], v[2:3], v[4:5]
	v_cmp_nlt_f64_e32 vcc, v[2:3], v[4:5]
	s_and_saveexec_b64 s[52:53], vcc
	s_cbranch_execz .LBB3_130
; %bb.129:                              ;   in Loop: Header=BB3_5 Depth=1
	v_cmp_eq_f64_e32 vcc, v[2:3], v[4:5]
	s_waitcnt lgkmcnt(0)
	v_cmp_gt_i32_e64 s[10:11], v6, v8
	s_and_b64 s[10:11], vcc, s[10:11]
	s_andn2_b64 s[50:51], s[50:51], exec
	s_and_b64 s[10:11], s[10:11], exec
	s_or_b64 s[50:51], s[50:51], s[10:11]
.LBB3_130:                              ;   in Loop: Header=BB3_5 Depth=1
	s_or_b64 exec, exec, s[52:53]
	s_and_saveexec_b64 s[10:11], s[50:51]
	s_cbranch_execz .LBB3_132
; %bb.131:                              ;   in Loop: Header=BB3_5 Depth=1
	s_waitcnt lgkmcnt(0)
	v_mov_b32_e32 v6, v8
	v_pk_mov_b32 v[2:3], v[4:5], v[4:5] op_sel:[0,1]
	ds_write_b64 v18, v[4:5]
	ds_write_b32 v19, v8
.LBB3_132:                              ;   in Loop: Header=BB3_5 Depth=1
	s_or_b64 exec, exec, s[10:11]
.LBB3_133:                              ;   in Loop: Header=BB3_5 Depth=1
	s_or_b64 exec, exec, s[12:13]
	s_waitcnt lgkmcnt(0)
	s_barrier
	s_and_saveexec_b64 s[50:51], s[4:5]
	s_cbranch_execz .LBB3_160
; %bb.134:                              ;   in Loop: Header=BB3_5 Depth=1
	ds_read_b64 v[4:5], v18 offset:512
	ds_read_b32 v8, v19 offset:256
	s_waitcnt lgkmcnt(1)
	v_cmp_lt_f64_e64 s[12:13], v[2:3], v[4:5]
	v_cmp_nlt_f64_e32 vcc, v[2:3], v[4:5]
	s_and_saveexec_b64 s[52:53], vcc
	s_cbranch_execz .LBB3_136
; %bb.135:                              ;   in Loop: Header=BB3_5 Depth=1
	v_cmp_eq_f64_e32 vcc, v[2:3], v[4:5]
	s_waitcnt lgkmcnt(0)
	v_cmp_gt_i32_e64 s[10:11], v6, v8
	s_and_b64 s[10:11], vcc, s[10:11]
	s_andn2_b64 s[12:13], s[12:13], exec
	s_and_b64 s[10:11], s[10:11], exec
	s_or_b64 s[12:13], s[12:13], s[10:11]
.LBB3_136:                              ;   in Loop: Header=BB3_5 Depth=1
	s_or_b64 exec, exec, s[52:53]
	s_and_saveexec_b64 s[10:11], s[12:13]
	s_cbranch_execz .LBB3_138
; %bb.137:                              ;   in Loop: Header=BB3_5 Depth=1
	v_pk_mov_b32 v[2:3], v[4:5], v[4:5] op_sel:[0,1]
	s_waitcnt lgkmcnt(0)
	v_mov_b32_e32 v6, v8
	ds_write_b64 v18, v[4:5]
	ds_write_b32 v19, v8
.LBB3_138:                              ;   in Loop: Header=BB3_5 Depth=1
	s_or_b64 exec, exec, s[10:11]
	ds_read_b64 v[4:5], v18 offset:256
	s_waitcnt lgkmcnt(1)
	ds_read_b32 v8, v19 offset:128
	s_waitcnt lgkmcnt(1)
	v_cmp_lt_f64_e64 s[12:13], v[2:3], v[4:5]
	v_cmp_nlt_f64_e32 vcc, v[2:3], v[4:5]
	s_and_saveexec_b64 s[52:53], vcc
	s_cbranch_execz .LBB3_140
; %bb.139:                              ;   in Loop: Header=BB3_5 Depth=1
	v_cmp_eq_f64_e32 vcc, v[2:3], v[4:5]
	s_waitcnt lgkmcnt(0)
	v_cmp_gt_i32_e64 s[10:11], v6, v8
	s_and_b64 s[10:11], vcc, s[10:11]
	s_andn2_b64 s[12:13], s[12:13], exec
	s_and_b64 s[10:11], s[10:11], exec
	s_or_b64 s[12:13], s[12:13], s[10:11]
.LBB3_140:                              ;   in Loop: Header=BB3_5 Depth=1
	s_or_b64 exec, exec, s[52:53]
	s_and_saveexec_b64 s[10:11], s[12:13]
	s_cbranch_execz .LBB3_142
; %bb.141:                              ;   in Loop: Header=BB3_5 Depth=1
	v_pk_mov_b32 v[2:3], v[4:5], v[4:5] op_sel:[0,1]
	s_waitcnt lgkmcnt(0)
	v_mov_b32_e32 v6, v8
	ds_write_b64 v18, v[4:5]
	ds_write_b32 v19, v8
.LBB3_142:                              ;   in Loop: Header=BB3_5 Depth=1
	s_or_b64 exec, exec, s[10:11]
	ds_read_b64 v[4:5], v18 offset:128
	s_waitcnt lgkmcnt(1)
	;; [unrolled: 28-line block ×6, first 2 shown]
	ds_read_b32 v8, v19 offset:4
	s_waitcnt lgkmcnt(1)
	v_cmp_eq_f64_e64 s[10:11], v[2:3], v[4:5]
	s_waitcnt lgkmcnt(0)
	v_cmp_gt_i32_e64 s[12:13], v6, v8
	v_cmp_lt_f64_e32 vcc, v[2:3], v[4:5]
	s_and_b64 s[10:11], s[10:11], s[12:13]
	s_or_b64 s[10:11], vcc, s[10:11]
	s_and_b64 exec, exec, s[10:11]
	s_cbranch_execz .LBB3_160
; %bb.159:                              ;   in Loop: Header=BB3_5 Depth=1
	ds_write_b64 v18, v[4:5]
	ds_write_b32 v19, v8
.LBB3_160:                              ;   in Loop: Header=BB3_5 Depth=1
	s_or_b64 exec, exec, s[50:51]
.LBB3_161:                              ;   in Loop: Header=BB3_5 Depth=1
	s_and_saveexec_b64 s[10:11], s[0:1]
	s_cbranch_execz .LBB3_163
; %bb.162:                              ;   in Loop: Header=BB3_5 Depth=1
	ds_read_b64 v[2:3], v7 offset:3088
	ds_read_b64 v[4:5], v7
	s_waitcnt lgkmcnt(0)
	v_cmp_lt_f64_e32 vcc, v[2:3], v[4:5]
	v_cndmask_b32_e32 v3, v3, v5, vcc
	v_cndmask_b32_e32 v2, v2, v4, vcc
	ds_write_b64 v7, v[2:3] offset:3088
.LBB3_163:                              ;   in Loop: Header=BB3_5 Depth=1
	s_or_b64 exec, exec, s[10:11]
.LBB3_164:                              ;   in Loop: Header=BB3_5 Depth=1
	s_waitcnt lgkmcnt(0)
	s_barrier
	ds_read_b128 v[8:11], v7 offset:3072
	ds_read_b64 v[2:3], v7 offset:3088
	s_waitcnt lgkmcnt(1)
	v_mul_f64 v[14:15], v[10:11], s[42:43]
	s_waitcnt lgkmcnt(0)
	v_div_scale_f64 v[4:5], s[10:11], v[2:3], v[2:3], v[10:11]
	v_rcp_f64_e32 v[12:13], v[4:5]
	v_fma_f64 v[16:17], -v[4:5], v[12:13], 1.0
	v_fmac_f64_e32 v[12:13], v[12:13], v[16:17]
	v_fma_f64 v[16:17], -v[4:5], v[12:13], 1.0
	v_fmac_f64_e32 v[12:13], v[12:13], v[16:17]
	v_div_scale_f64 v[16:17], vcc, v[10:11], v[2:3], v[10:11]
	v_mul_f64 v[30:31], v[16:17], v[12:13]
	v_fma_f64 v[4:5], -v[4:5], v[30:31], v[16:17]
	s_nop 1
	v_div_fmas_f64 v[4:5], v[4:5], v[12:13], v[30:31]
	v_div_fixup_f64 v[4:5], v[4:5], v[2:3], v[10:11]
	v_mul_f64 v[4:5], v[14:15], v[4:5]
	v_cmp_ge_f64_e32 vcc, v[8:9], v[4:5]
	s_cbranch_vccnz .LBB3_170
; %bb.165:                              ;   in Loop: Header=BB3_5 Depth=1
	ds_read_b32 v6, v7 offset:3096
	v_mul_f64 v[2:3], v[2:3], s[42:43]
	s_waitcnt lgkmcnt(0)
	v_readfirstlane_b32 s10, v6
	s_add_i32 s10, s10, s48
	s_ashr_i32 s11, s10, 31
	s_lshl_b64 s[10:11], s[10:11], 3
	s_add_u32 s10, s57, s10
	s_addc_u32 s11, s58, s11
	global_load_dwordx2 v[4:5], v7, s[10:11]
	v_readfirstlane_b32 s47, v6
	s_waitcnt vmcnt(0)
	v_cmp_nge_f64_e64 s[10:11], |v[4:5]|, v[2:3]
	s_and_b64 vcc, exec, s[10:11]
	s_cbranch_vccnz .LBB3_211
; %bb.166:                              ;   in Loop: Header=BB3_5 Depth=1
	s_and_saveexec_b64 s[10:11], s[8:9]
	s_cbranch_execz .LBB3_169
; %bb.167:                              ;   in Loop: Header=BB3_5 Depth=1
	v_add_u32_e32 v2, s46, v0
	v_ashrrev_i32_e32 v3, 31, v2
	v_lshlrev_b64 v[2:3], 3, v[2:3]
	v_add_u32_e32 v4, s48, v0
	v_mov_b32_e32 v6, s72
	v_add_co_u32_e32 v2, vcc, s71, v2
	v_ashrrev_i32_e32 v5, 31, v4
	v_addc_co_u32_e32 v3, vcc, v6, v3, vcc
	v_lshlrev_b64 v[4:5], 3, v[4:5]
	v_add_co_u32_e32 v4, vcc, s71, v4
	v_addc_co_u32_e32 v5, vcc, v6, v5, vcc
	s_mov_b64 s[8:9], 0
	v_mov_b32_e32 v6, v0
.LBB3_168:                              ;   Parent Loop BB3_5 Depth=1
                                        ; =>  This Inner Loop Header: Depth=2
	global_load_dwordx2 v[8:9], v[4:5], off
	v_add_u32_e32 v6, 0x100, v6
	v_cmp_lt_i32_e32 vcc, s36, v6
	s_or_b64 s[8:9], vcc, s[8:9]
	s_waitcnt vmcnt(0)
	global_store_dwordx2 v[2:3], v[8:9], off
	v_add_co_u32_e32 v2, vcc, 0x800, v2
	v_addc_co_u32_e32 v3, vcc, 0, v3, vcc
	v_add_co_u32_e32 v4, vcc, 0x800, v4
	v_addc_co_u32_e32 v5, vcc, 0, v5, vcc
	s_andn2_b64 exec, exec, s[8:9]
	s_cbranch_execnz .LBB3_168
.LBB3_169:                              ;   in Loop: Header=BB3_5 Depth=1
	s_or_b64 exec, exec, s[10:11]
	s_mov_b64 s[10:11], -1
	s_mov_b32 s8, -1
	s_barrier
	s_add_i32 s50, s8, s36
	s_add_i32 s51, s50, 1
	s_cmp_eq_u32 s47, s51
	s_cbranch_scc0 .LBB3_171
	s_branch .LBB3_186
.LBB3_170:                              ;   in Loop: Header=BB3_5 Depth=1
	s_mov_b64 s[10:11], -1
	s_mov_b32 s8, -1
	s_mov_b32 s47, s36
	s_add_i32 s50, s8, s36
	s_add_i32 s51, s50, 1
	s_cmp_eq_u32 s47, s51
	s_cbranch_scc1 .LBB3_186
.LBB3_171:                              ;   in Loop: Header=BB3_5 Depth=1
	s_and_saveexec_b64 s[8:9], s[0:1]
	s_cbranch_execz .LBB3_173
; %bb.172:                              ;   in Loop: Header=BB3_5 Depth=1
	s_mul_i32 s12, s51, s61
	s_ashr_i32 s13, s12, 31
	s_lshl_b64 s[12:13], s[12:13], 3
	s_add_u32 s12, s20, s12
	s_addc_u32 s13, s33, s13
	global_load_dwordx2 v[2:3], v7, s[12:13]
	s_mul_i32 s12, s47, s61
	s_ashr_i32 s13, s12, 31
	s_lshl_b64 s[12:13], s[12:13], 3
	s_add_u32 s12, s20, s12
	s_addc_u32 s13, s33, s13
	s_waitcnt vmcnt(0)
	global_store_dwordx2 v7, v[2:3], s[12:13]
.LBB3_173:                              ;   in Loop: Header=BB3_5 Depth=1
	s_or_b64 exec, exec, s[8:9]
	s_sub_i32 s53, s50, s47
	v_cmp_gt_i32_e32 vcc, s53, v0
	s_mul_i32 s52, s51, s21
	s_and_saveexec_b64 s[12:13], vcc
	s_cbranch_execz .LBB3_176
; %bb.174:                              ;   in Loop: Header=BB3_5 Depth=1
	v_add_u32_e32 v2, s47, v1
	s_add_i32 s80, s47, s52
	v_mul_lo_u32 v2, s21, v2
	v_add_u32_e32 v2, s47, v2
	s_add_i32 s80, s80, 1
	s_mov_b64 s[48:49], 0
	v_mov_b32_e32 v4, v0
.LBB3_175:                              ;   Parent Loop BB3_5 Depth=1
                                        ; =>  This Inner Loop Header: Depth=2
	v_add_u32_e32 v8, s80, v4
	v_ashrrev_i32_e32 v9, 31, v8
	v_lshlrev_b64 v[8:9], 3, v[8:9]
	v_mov_b32_e32 v5, s33
	v_add_co_u32_e32 v8, vcc, s20, v8
	v_addc_co_u32_e32 v9, vcc, v5, v9, vcc
	global_load_dwordx2 v[8:9], v[8:9], off
	v_ashrrev_i32_e32 v3, 31, v2
	v_add_u32_e32 v4, 0x100, v4
	v_lshlrev_b64 v[10:11], 3, v[2:3]
	v_cmp_le_i32_e32 vcc, s53, v4
	v_add_co_u32_e64 v10, s[8:9], s20, v10
	v_add_u32_e32 v2, s75, v2
	v_addc_co_u32_e64 v11, s[8:9], v5, v11, s[8:9]
	s_or_b64 s[48:49], vcc, s[48:49]
	s_waitcnt vmcnt(0)
	global_store_dwordx2 v[10:11], v[8:9], off
	s_andn2_b64 exec, exec, s[48:49]
	s_cbranch_execnz .LBB3_175
.LBB3_176:                              ;   in Loop: Header=BB3_5 Depth=1
	s_or_b64 exec, exec, s[12:13]
	v_cmp_gt_i32_e32 vcc, s47, v0
	s_and_saveexec_b64 s[8:9], vcc
	s_cbranch_execz .LBB3_179
; %bb.177:                              ;   in Loop: Header=BB3_5 Depth=1
	s_mul_i32 s12, s47, s21
	v_add_u32_e32 v2, s12, v0
	v_ashrrev_i32_e32 v3, 31, v2
	v_lshlrev_b64 v[2:3], 3, v[2:3]
	v_add_u32_e32 v4, s52, v0
	v_mov_b32_e32 v6, s74
	v_add_co_u32_e32 v2, vcc, s73, v2
	v_ashrrev_i32_e32 v5, 31, v4
	v_addc_co_u32_e32 v3, vcc, v6, v3, vcc
	v_lshlrev_b64 v[4:5], 3, v[4:5]
	v_add_co_u32_e32 v4, vcc, s73, v4
	v_addc_co_u32_e32 v5, vcc, v6, v5, vcc
	s_mov_b64 s[12:13], 0
	v_mov_b32_e32 v6, v0
.LBB3_178:                              ;   Parent Loop BB3_5 Depth=1
                                        ; =>  This Inner Loop Header: Depth=2
	global_load_dwordx2 v[8:9], v[4:5], off
	v_add_u32_e32 v6, 0x100, v6
	v_cmp_le_i32_e32 vcc, s47, v6
	s_or_b64 s[12:13], vcc, s[12:13]
	s_waitcnt vmcnt(0)
	global_store_dwordx2 v[2:3], v[8:9], off
	v_add_co_u32_e32 v2, vcc, 0x800, v2
	v_addc_co_u32_e32 v3, vcc, 0, v3, vcc
	v_add_co_u32_e32 v4, vcc, 0x800, v4
	v_addc_co_u32_e32 v5, vcc, 0, v5, vcc
	s_andn2_b64 exec, exec, s[12:13]
	s_cbranch_execnz .LBB3_178
.LBB3_179:                              ;   in Loop: Header=BB3_5 Depth=1
	s_or_b64 exec, exec, s[8:9]
	s_not_b32 s48, s36
	s_add_i32 s48, s48, s22
	v_cmp_gt_i32_e32 vcc, s48, v0
	s_barrier
	s_and_saveexec_b64 s[8:9], vcc
	s_cbranch_execz .LBB3_182
; %bb.180:                              ;   in Loop: Header=BB3_5 Depth=1
	v_add_u32_e32 v2, s36, v1
	s_ashr_i32 s49, s50, 31
	v_mul_lo_u32 v2, s21, v2
	s_mov_b64 s[12:13], 0
	v_mov_b32_e32 v3, v0
.LBB3_181:                              ;   Parent Loop BB3_5 Depth=1
                                        ; =>  This Inner Loop Header: Depth=2
	v_ashrrev_i32_e32 v5, 31, v2
	v_mov_b32_e32 v6, s49
	v_add_co_u32_e32 v8, vcc, s50, v2
	v_addc_co_u32_e32 v9, vcc, v5, v6, vcc
	v_add_u32_e32 v4, s47, v2
	v_lshlrev_b64 v[8:9], 3, v[8:9]
	v_mov_b32_e32 v10, s64
	v_ashrrev_i32_e32 v5, 31, v4
	v_add_co_u32_e32 v8, vcc, s63, v8
	v_lshlrev_b64 v[4:5], 3, v[4:5]
	v_addc_co_u32_e32 v9, vcc, v10, v9, vcc
	v_mov_b32_e32 v11, s33
	v_add_co_u32_e32 v4, vcc, s20, v4
	v_addc_co_u32_e32 v5, vcc, v11, v5, vcc
	global_load_dwordx2 v[10:11], v[4:5], off
	global_load_dwordx2 v[12:13], v[8:9], off
	v_add_u32_e32 v3, 0x100, v3
	v_cmp_le_i32_e32 vcc, s48, v3
	v_add_u32_e32 v2, s75, v2
	s_or_b64 s[12:13], vcc, s[12:13]
	s_waitcnt vmcnt(1)
	global_store_dwordx2 v[8:9], v[10:11], off
	s_waitcnt vmcnt(1)
	global_store_dwordx2 v[4:5], v[12:13], off
	s_andn2_b64 exec, exec, s[12:13]
	s_cbranch_execnz .LBB3_181
.LBB3_182:                              ;   in Loop: Header=BB3_5 Depth=1
	s_or_b64 exec, exec, s[8:9]
	s_sub_i32 s48, s22, s51
	v_cmp_gt_i32_e32 vcc, s48, v0
	s_and_saveexec_b64 s[8:9], vcc
	s_cbranch_execz .LBB3_185
; %bb.183:                              ;   in Loop: Header=BB3_5 Depth=1
	v_add_u32_e32 v2, s50, v28
	s_ashr_i32 s49, s50, 31
	v_mul_lo_u32 v2, s22, v2
	s_mov_b64 s[12:13], 0
	v_mov_b32_e32 v3, v0
.LBB3_184:                              ;   Parent Loop BB3_5 Depth=1
                                        ; =>  This Inner Loop Header: Depth=2
	v_ashrrev_i32_e32 v5, 31, v2
	v_mov_b32_e32 v6, s49
	v_add_co_u32_e32 v8, vcc, s50, v2
	v_addc_co_u32_e32 v9, vcc, v5, v6, vcc
	v_add_u32_e32 v4, s47, v2
	v_lshlrev_b64 v[8:9], 3, v[8:9]
	v_mov_b32_e32 v10, s66
	v_ashrrev_i32_e32 v5, 31, v4
	v_add_co_u32_e32 v8, vcc, s65, v8
	v_lshlrev_b64 v[4:5], 3, v[4:5]
	v_addc_co_u32_e32 v9, vcc, v10, v9, vcc
	v_mov_b32_e32 v11, s58
	v_add_co_u32_e32 v4, vcc, s57, v4
	v_addc_co_u32_e32 v5, vcc, v11, v5, vcc
	global_load_dwordx2 v[10:11], v[4:5], off
	global_load_dwordx2 v[12:13], v[8:9], off
	v_add_u32_e32 v3, 0x100, v3
	v_cmp_le_i32_e32 vcc, s48, v3
	v_add_u32_e32 v2, s76, v2
	s_or_b64 s[12:13], vcc, s[12:13]
	s_waitcnt vmcnt(1)
	global_store_dwordx2 v[8:9], v[10:11], off
	s_waitcnt vmcnt(1)
	global_store_dwordx2 v[4:5], v[12:13], off
	s_andn2_b64 exec, exec, s[12:13]
	s_cbranch_execnz .LBB3_184
.LBB3_185:                              ;   in Loop: Header=BB3_5 Depth=1
	s_or_b64 exec, exec, s[8:9]
	s_barrier
.LBB3_186:                              ;   in Loop: Header=BB3_5 Depth=1
	s_xor_b64 s[10:11], s[10:11], -1
	s_mov_b64 s[8:9], -1
	s_and_b64 vcc, exec, s[10:11]
                                        ; implicit-def: $sgpr12
	s_cbranch_vccnz .LBB3_190
; %bb.187:                              ;   in Loop: Header=BB3_5 Depth=1
	s_and_b64 vcc, exec, s[8:9]
	s_cbranch_vccnz .LBB3_198
.LBB3_188:                              ;   in Loop: Header=BB3_5 Depth=1
.LBB3_189:                              ;   in Loop: Header=BB3_5 Depth=1
	s_and_saveexec_b64 s[6:7], s[0:1]
	s_cbranch_execz .LBB3_4
	s_branch .LBB3_207
.LBB3_190:                              ;   in Loop: Header=BB3_5 Depth=1
	s_cmp_lt_i32 s36, 2
	s_cbranch_scc1 .LBB3_195
; %bb.191:                              ;   in Loop: Header=BB3_5 Depth=1
	s_add_i32 s48, s36, -2
	v_cmp_ge_i32_e32 vcc, s48, v0
	s_and_saveexec_b64 s[10:11], vcc
	s_cbranch_execz .LBB3_194
; %bb.192:                              ;   in Loop: Header=BB3_5 Depth=1
	s_add_i32 s49, s36, -1
	s_ashr_i32 s9, s46, 31
	s_ashr_i32 s50, s36, 31
	s_add_u32 s8, s46, s36
	s_addc_u32 s9, s9, s50
	s_lshl_b64 s[8:9], s[8:9], 3
	s_add_u32 s8, s67, s8
	s_addc_u32 s9, s68, s9
	s_add_i32 s12, s46, s36
	s_ashr_i32 s13, s12, 31
	s_lshl_b64 s[12:13], s[12:13], 3
	s_add_u32 s12, s57, s12
	s_addc_u32 s13, s58, s13
	global_load_dwordx2 v[14:15], v7, s[8:9]
	global_load_dwordx2 v[10:11], v7, s[12:13]
	s_add_i32 s8, s79, -1
	s_mul_i32 s51, s8, s22
	s_ashr_i32 s9, s51, 31
	s_add_u32 s8, s51, s36
	s_addc_u32 s9, s9, s50
	s_lshl_b64 s[8:9], s[8:9], 3
	s_add_u32 s8, s67, s8
	s_addc_u32 s9, s68, s9
	global_load_dwordx2 v[12:13], v7, s[8:9]
	s_mul_i32 s8, s36, s21
	v_add_u32_e32 v2, s46, v0
	v_add_u32_e32 v4, s8, v0
	v_ashrrev_i32_e32 v3, 31, v2
	v_lshlrev_b64 v[2:3], 3, v[2:3]
	v_mov_b32_e32 v44, s72
	s_mul_i32 s49, s49, s21
	v_ashrrev_i32_e32 v5, 31, v4
	v_add_co_u32_e32 v2, vcc, s71, v2
	v_add_u32_e32 v8, s49, v0
	v_lshlrev_b64 v[4:5], 3, v[4:5]
	v_addc_co_u32_e32 v3, vcc, v44, v3, vcc
	v_mov_b32_e32 v6, s74
	v_ashrrev_i32_e32 v9, 31, v8
	v_add_co_u32_e32 v4, vcc, s73, v4
	v_addc_co_u32_e32 v5, vcc, v6, v5, vcc
	v_lshlrev_b64 v[8:9], 3, v[8:9]
	v_add_co_u32_e32 v8, vcc, s73, v8
	v_addc_co_u32_e32 v9, vcc, v6, v9, vcc
	v_add_u32_e32 v16, s51, v0
	v_ashrrev_i32_e32 v17, 31, v16
	v_lshlrev_b64 v[16:17], 3, v[16:17]
	s_mov_b64 s[12:13], 0
	v_mov_b32_e32 v6, v0
	s_waitcnt vmcnt(1)
	v_div_scale_f64 v[30:31], s[8:9], v[14:15], v[14:15], v[10:11]
	v_rcp_f64_e32 v[32:33], v[30:31]
	v_div_scale_f64 v[34:35], vcc, v[10:11], v[14:15], v[10:11]
	v_fma_f64 v[36:37], -v[30:31], v[32:33], 1.0
	v_fmac_f64_e32 v[32:33], v[32:33], v[36:37]
	v_fma_f64 v[36:37], -v[30:31], v[32:33], 1.0
	s_waitcnt vmcnt(0)
	v_div_scale_f64 v[38:39], s[8:9], v[14:15], v[14:15], v[12:13]
	v_fmac_f64_e32 v[32:33], v[32:33], v[36:37]
	v_rcp_f64_e32 v[36:37], v[38:39]
	v_mul_f64 v[42:43], v[34:35], v[32:33]
	v_fma_f64 v[30:31], -v[30:31], v[42:43], v[34:35]
	v_div_fmas_f64 v[30:31], v[30:31], v[32:33], v[42:43]
	v_div_fixup_f64 v[10:11], v[30:31], v[14:15], v[10:11]
	v_fma_f64 v[30:31], -v[38:39], v[36:37], 1.0
	v_fmac_f64_e32 v[36:37], v[36:37], v[30:31]
	v_fma_f64 v[30:31], -v[38:39], v[36:37], 1.0
	v_div_scale_f64 v[40:41], s[8:9], v[12:13], v[14:15], v[12:13]
	v_fmac_f64_e32 v[36:37], v[36:37], v[30:31]
	v_mul_f64 v[30:31], v[40:41], v[36:37]
	v_fma_f64 v[32:33], -v[38:39], v[30:31], v[40:41]
	s_mov_b64 vcc, s[8:9]
	v_div_fmas_f64 v[30:31], v[32:33], v[36:37], v[30:31]
	v_div_fixup_f64 v[12:13], v[30:31], v[14:15], v[12:13]
	v_fma_f64 v[30:31], v[10:11], v[12:13], -1.0
	v_mul_f64 v[30:31], v[14:15], v[30:31]
	v_div_scale_f64 v[32:33], s[8:9], v[30:31], v[30:31], 1.0
	v_rcp_f64_e32 v[34:35], v[32:33]
	v_add_co_u32_e32 v14, vcc, s71, v16
	v_addc_co_u32_e32 v15, vcc, v44, v17, vcc
	v_fma_f64 v[36:37], -v[32:33], v[34:35], 1.0
	v_fmac_f64_e32 v[34:35], v[34:35], v[36:37]
	v_fma_f64 v[36:37], -v[32:33], v[34:35], 1.0
	v_div_scale_f64 v[16:17], vcc, 1.0, v[30:31], 1.0
	v_fmac_f64_e32 v[34:35], v[34:35], v[36:37]
	v_mul_f64 v[36:37], v[16:17], v[34:35]
	v_fma_f64 v[16:17], -v[32:33], v[36:37], v[16:17]
	s_nop 0
	v_div_fmas_f64 v[16:17], v[16:17], v[34:35], v[36:37]
	v_div_fixup_f64 v[16:17], v[16:17], v[30:31], 1.0
.LBB3_193:                              ;   Parent Loop BB3_5 Depth=1
                                        ; =>  This Inner Loop Header: Depth=2
	global_load_dwordx2 v[30:31], v[14:15], off
	global_load_dwordx2 v[32:33], v[2:3], off
	v_add_u32_e32 v6, 0x100, v6
	v_cmp_lt_i32_e32 vcc, s48, v6
	s_or_b64 s[12:13], vcc, s[12:13]
	s_waitcnt vmcnt(0)
	v_fma_f64 v[30:31], v[10:11], v[30:31], -v[32:33]
	v_mul_f64 v[30:31], v[16:17], v[30:31]
	global_store_dwordx2 v[8:9], v[30:31], off
	global_load_dwordx2 v[30:31], v[2:3], off
	s_nop 0
	global_load_dwordx2 v[32:33], v[14:15], off
	s_waitcnt vmcnt(0)
	v_fma_f64 v[30:31], v[12:13], v[30:31], -v[32:33]
	v_mul_f64 v[30:31], v[16:17], v[30:31]
	global_store_dwordx2 v[4:5], v[30:31], off
	v_add_co_u32_e32 v4, vcc, s78, v4
	v_addc_co_u32_e32 v5, vcc, 0, v5, vcc
	v_add_co_u32_e32 v8, vcc, s78, v8
	v_addc_co_u32_e32 v9, vcc, 0, v9, vcc
	;; [unrolled: 2-line block ×4, first 2 shown]
	s_andn2_b64 exec, exec, s[12:13]
	s_cbranch_execnz .LBB3_193
.LBB3_194:                              ;   in Loop: Header=BB3_5 Depth=1
	s_or_b64 exec, exec, s[10:11]
.LBB3_195:                              ;   in Loop: Header=BB3_5 Depth=1
	s_and_saveexec_b64 s[8:9], s[0:1]
	s_cbranch_execz .LBB3_197
; %bb.196:                              ;   in Loop: Header=BB3_5 Depth=1
	s_add_i32 s10, s79, -1
	s_mul_i32 s10, s10, s22
	s_add_i32 s12, s36, -1
	s_ashr_i32 s11, s10, 31
	s_ashr_i32 s48, s36, 31
	s_add_u32 s10, s10, s36
	s_addc_u32 s11, s11, s48
	s_lshl_b64 s[10:11], s[10:11], 3
	s_add_u32 s10, s67, s10
	s_addc_u32 s11, s68, s11
	global_load_dwordx2 v[2:3], v7, s[10:11]
	s_mul_i32 s10, s12, s61
	s_ashr_i32 s11, s10, 31
	s_lshl_b64 s[10:11], s[10:11], 3
	s_add_u32 s10, s20, s10
	s_addc_u32 s11, s33, s11
	s_ashr_i32 s13, s46, 31
	s_add_u32 s12, s46, s36
	s_addc_u32 s13, s13, s48
	s_lshl_b64 s[12:13], s[12:13], 3
	s_add_u32 s12, s67, s12
	s_addc_u32 s13, s68, s13
	s_mul_i32 s49, s36, s21
	s_waitcnt vmcnt(0)
	global_store_dwordx2 v7, v[2:3], s[10:11]
	global_load_dwordx2 v[2:3], v7, s[12:13]
	s_ashr_i32 s11, s49, 31
	s_add_u32 s10, s36, s49
	s_addc_u32 s11, s48, s11
	s_lshl_b64 s[10:11], s[10:11], 3
	s_add_u32 s10, s69, s10
	s_addc_u32 s11, s70, s11
	s_add_i32 s12, s46, s36
	s_ashr_i32 s13, s12, 31
	s_lshl_b64 s[12:13], s[12:13], 3
	s_add_u32 s12, s57, s12
	s_addc_u32 s13, s58, s13
	s_waitcnt vmcnt(0)
	global_store_dwordx2 v7, v[2:3], s[10:11]
	global_load_dwordx2 v[2:3], v7, s[12:13]
	s_add_i32 s10, s49, s36
	s_ashr_i32 s11, s10, 31
	s_lshl_b64 s[10:11], s[10:11], 3
	s_add_u32 s10, s20, s10
	s_addc_u32 s11, s33, s11
	s_waitcnt vmcnt(0)
	global_store_dwordx2 v7, v[2:3], s[10:11]
.LBB3_197:                              ;   in Loop: Header=BB3_5 Depth=1
	s_or_b64 exec, exec, s[8:9]
	s_mov_b64 s[8:9], 0
	s_mov_b32 s12, -2
	s_barrier
	s_branch .LBB3_188
.LBB3_198:                              ;   in Loop: Header=BB3_5 Depth=1
	s_add_i32 s8, s46, s36
	s_ashr_i32 s9, s8, 31
	s_lshl_b64 s[8:9], s[8:9], 3
	s_add_u32 s8, s57, s8
	s_addc_u32 s9, s58, s9
	global_load_dwordx2 v[2:3], v7, s[8:9]
	s_and_saveexec_b64 s[8:9], s[0:1]
	s_cbranch_execz .LBB3_200
; %bb.199:                              ;   in Loop: Header=BB3_5 Depth=1
	s_mul_i32 s10, s36, s61
	s_ashr_i32 s11, s10, 31
	s_lshl_b64 s[10:11], s[10:11], 3
	s_add_u32 s10, s20, s10
	s_addc_u32 s11, s33, s11
	s_waitcnt vmcnt(0)
	global_store_dwordx2 v7, v[2:3], s[10:11]
.LBB3_200:                              ;   in Loop: Header=BB3_5 Depth=1
	s_or_b64 exec, exec, s[8:9]
	s_and_saveexec_b64 s[8:9], s[6:7]
	s_cbranch_execz .LBB3_203
; %bb.201:                              ;   in Loop: Header=BB3_5 Depth=1
	s_waitcnt vmcnt(0)
	v_div_scale_f64 v[4:5], s[6:7], v[2:3], v[2:3], 1.0
	v_rcp_f64_e32 v[8:9], v[4:5]
	v_div_scale_f64 v[10:11], vcc, 1.0, v[2:3], 1.0
	s_mul_i32 s6, s36, s21
	v_fma_f64 v[12:13], -v[4:5], v[8:9], 1.0
	v_fmac_f64_e32 v[8:9], v[8:9], v[12:13]
	v_fma_f64 v[12:13], -v[4:5], v[8:9], 1.0
	v_fmac_f64_e32 v[8:9], v[8:9], v[12:13]
	v_mul_f64 v[12:13], v[10:11], v[8:9]
	v_fma_f64 v[4:5], -v[4:5], v[12:13], v[10:11]
	v_div_fmas_f64 v[4:5], v[4:5], v[8:9], v[12:13]
	v_div_fixup_f64 v[2:3], v[4:5], v[2:3], 1.0
	v_add_u32_e32 v4, s6, v0
	v_ashrrev_i32_e32 v5, 31, v4
	v_lshlrev_b64 v[4:5], 3, v[4:5]
	v_add_u32_e32 v8, s46, v0
	v_mov_b32_e32 v6, s74
	v_add_co_u32_e32 v4, vcc, s73, v4
	v_ashrrev_i32_e32 v9, 31, v8
	v_addc_co_u32_e32 v5, vcc, v6, v5, vcc
	v_lshlrev_b64 v[8:9], 3, v[8:9]
	v_mov_b32_e32 v6, s72
	v_add_co_u32_e32 v8, vcc, s71, v8
	v_addc_co_u32_e32 v9, vcc, v6, v9, vcc
	s_mov_b64 s[6:7], 0
	v_mov_b32_e32 v6, v0
.LBB3_202:                              ;   Parent Loop BB3_5 Depth=1
                                        ; =>  This Inner Loop Header: Depth=2
	global_load_dwordx2 v[10:11], v[8:9], off
	v_add_u32_e32 v6, 0x100, v6
	v_cmp_le_i32_e32 vcc, s36, v6
	s_or_b64 s[6:7], vcc, s[6:7]
	s_waitcnt vmcnt(0)
	v_mul_f64 v[10:11], v[2:3], v[10:11]
	global_store_dwordx2 v[4:5], v[10:11], off
	v_add_co_u32_e32 v4, vcc, 0x800, v4
	v_addc_co_u32_e32 v5, vcc, 0, v5, vcc
	v_add_co_u32_e32 v8, vcc, 0x800, v8
	v_addc_co_u32_e32 v9, vcc, 0, v9, vcc
	s_andn2_b64 exec, exec, s[6:7]
	s_cbranch_execnz .LBB3_202
.LBB3_203:                              ;   in Loop: Header=BB3_5 Depth=1
	s_or_b64 exec, exec, s[8:9]
	s_mov_b64 s[8:9], -1
	s_mov_b32 s12, -1
	s_barrier
	s_branch .LBB3_189
.LBB3_204:                              ;   in Loop: Header=BB3_5 Depth=1
	s_waitcnt vmcnt(0)
	ds_read_b32 v2, v7 offset:3100
	s_waitcnt lgkmcnt(0)
	v_readfirstlane_b32 s6, v2
	s_cmp_eq_u32 s6, 0
	s_cselect_b64 s[6:7], -1, 0
	s_and_b64 s[8:9], s[0:1], s[6:7]
	s_and_saveexec_b64 s[6:7], s[8:9]
	s_cbranch_execz .LBB3_206
; %bb.205:                              ;   in Loop: Header=BB3_5 Depth=1
	s_add_i32 s8, s36, 1
	v_mov_b32_e32 v2, s8
	ds_write_b32 v7, v2 offset:3100
.LBB3_206:                              ;   in Loop: Header=BB3_5 Depth=1
	s_or_b64 exec, exec, s[6:7]
	s_mov_b32 s12, -1
	s_mov_b64 s[8:9], -1
	s_mov_b32 s47, s36
	s_and_saveexec_b64 s[6:7], s[0:1]
	s_cbranch_execz .LBB3_4
.LBB3_207:                              ;   in Loop: Header=BB3_5 Depth=1
	s_xor_b64 s[48:49], s[8:9], -1
	s_lshl_b64 s[8:9], s[36:37], 2
	s_add_u32 s8, s54, s8
	s_addc_u32 s9, s55, s9
	s_mov_b64 s[10:11], -1
	s_and_b64 vcc, exec, s[48:49]
	s_cbranch_vccz .LBB3_209
; %bb.208:                              ;   in Loop: Header=BB3_5 Depth=1
	s_not_b32 s10, s47
	s_waitcnt vmcnt(0)
	v_mov_b32_e32 v2, s10
	v_mov_b32_e32 v3, s10
	global_store_dwordx2 v7, v[2:3], s[8:9] offset:-4
	s_mov_b64 s[10:11], 0
.LBB3_209:                              ;   in Loop: Header=BB3_5 Depth=1
	s_andn2_b64 vcc, exec, s[10:11]
	s_cbranch_vccnz .LBB3_4
; %bb.210:                              ;   in Loop: Header=BB3_5 Depth=1
	s_add_i32 s10, s47, 1
	s_waitcnt vmcnt(0)
	v_mov_b32_e32 v2, s10
	global_store_dword v7, v2, s[8:9]
	s_branch .LBB3_4
.LBB3_211:                              ;   in Loop: Header=BB3_5 Depth=1
	s_mov_b64 s[10:11], 0
	s_mov_b32 s8, -2
	s_add_i32 s50, s8, s36
	s_add_i32 s51, s50, 1
	s_cmp_eq_u32 s47, s51
	s_cbranch_scc0 .LBB3_171
	s_branch .LBB3_186
.LBB3_212:
	s_add_i32 s6, s79, 1
.LBB3_213:
	s_and_saveexec_b64 s[2:3], s[0:1]
	s_cbranch_execz .LBB3_215
; %bb.214:
	s_lshl_b64 s[0:1], s[34:35], 2
	s_add_u32 s4, s16, s0
	s_addc_u32 s5, s17, s1
	s_waitcnt vmcnt(0)
	v_mov_b32_e32 v2, 0
	s_add_u32 s0, s14, s0
	ds_read_b32 v3, v2 offset:3100
	s_addc_u32 s1, s15, s1
	s_not_b32 s7, s36
	s_add_i32 s7, s7, s22
	v_mov_b32_e32 v4, s7
	global_store_dword v2, v4, s[4:5]
	s_waitcnt lgkmcnt(0)
	global_store_dword v2, v3, s[0:1]
.LBB3_215:
	s_or_b64 exec, exec, s[2:3]
	s_abs_i32 s0, s23
	s_waitcnt vmcnt(0)
	v_cvt_f32_u32_e32 v2, s0
	s_sub_i32 s3, 0, s0
	s_abs_i32 s2, s36
	s_ashr_i32 s1, s36, 31
	v_rcp_iflag_f32_e32 v2, v2
	s_mov_b32 s5, 0
	v_mul_f32_e32 v2, 0x4f7ffffe, v2
	v_cvt_u32_f32_e32 v2, v2
	v_readfirstlane_b32 s4, v2
	s_mul_i32 s3, s3, s4
	s_mul_hi_u32 s3, s4, s3
	s_add_i32 s4, s4, s3
	s_mul_hi_u32 s3, s2, s4
	s_mul_i32 s3, s3, s0
	s_sub_i32 s2, s2, s3
	s_sub_i32 s3, s2, s0
	s_cmp_ge_u32 s2, s0
	s_cselect_b32 s2, s3, s2
	s_sub_i32 s3, s2, s0
	s_cmp_ge_u32 s2, s0
	s_cselect_b32 s0, s3, s2
	s_xor_b32 s0, s0, s1
	s_sub_i32 s0, s1, s0
	s_add_i32 s4, s36, s0
	s_add_i32 s2, s36, 1
	s_cmp_lt_i32 s4, 0
	s_cbranch_scc1 .LBB3_233
; %bb.216:
	s_mul_i32 s6, s6, s22
	s_not_b32 s3, s36
	s_mul_i32 s0, s2, s21
	s_ashr_i32 s7, s6, 31
	s_add_i32 s3, s3, s22
	s_ashr_i32 s1, s0, 31
	s_lshl_b64 s[8:9], s[6:7], 3
	s_add_u32 s34, s57, s8
	s_addc_u32 s35, s58, s9
	s_cmp_gt_i32 s3, 0
	s_cselect_b64 s[6:7], -1, 0
	s_lshl_b64 s[0:1], s[0:1], 3
	s_add_u32 s36, s20, s0
	s_addc_u32 s37, s33, s1
	s_add_u32 s8, s30, s8
	s_addc_u32 s9, s31, s9
	;; [unrolled: 2-line block ×3, first 2 shown]
	s_ashr_i32 s9, s22, 31
	s_mov_b32 s8, s22
	s_lshl_b64 s[8:9], s[8:9], 3
	s_add_u32 s10, s26, s28
	s_addc_u32 s11, s27, s29
	s_add_u32 s0, s10, s0
	s_addc_u32 s1, s11, s1
	;; [unrolled: 2-line block ×3, first 2 shown]
	v_mov_b32_e32 v2, s1
	v_add_co_u32_e32 v12, vcc, s0, v18
	s_ashr_i32 s1, s21, 31
	s_mov_b32 s0, s21
	s_lshl_b64 s[10:11], s[0:1], 3
	v_mov_b32_e32 v3, 0
	v_addc_co_u32_e32 v13, vcc, 0, v2, vcc
	v_mov_b32_e32 v14, s11
	s_branch .LBB3_218
.LBB3_217:                              ;   in Loop: Header=BB3_218 Depth=1
	s_or_b64 exec, exec, s[0:1]
	s_sub_i32 s4, s4, s23
	s_cmp_gt_i32 s4, -1
	s_cbranch_scc0 .LBB3_233
.LBB3_218:                              ; =>This Loop Header: Depth=1
                                        ;     Child Loop BB3_221 Depth 2
                                        ;       Child Loop BB3_224 Depth 3
                                        ;         Child Loop BB3_226 Depth 4
                                        ;     Child Loop BB3_230 Depth 2
                                        ;       Child Loop BB3_232 Depth 3
	s_sub_i32 s0, s2, s4
	s_min_i32 s11, s0, s23
	s_cmp_lt_i32 s11, 1
	s_cbranch_scc1 .LBB3_227
; %bb.219:                              ;   in Loop: Header=BB3_218 Depth=1
	s_lshl_b64 s[0:1], s[4:5], 3
	s_add_u32 s12, s24, s0
	s_addc_u32 s13, s25, s1
	s_add_i32 s18, s11, s4
	v_mov_b32_e32 v2, s1
	v_add_co_u32_e32 v4, vcc, s0, v12
	s_add_u32 s19, s20, s0
	v_addc_co_u32_e32 v5, vcc, v13, v2, vcc
	s_addc_u32 s26, s33, s1
	s_mov_b32 s27, s4
	s_branch .LBB3_221
.LBB3_220:                              ;   in Loop: Header=BB3_221 Depth=2
	s_or_b64 exec, exec, s[14:15]
	s_add_i32 s27, s27, 1
	s_add_u32 s12, s12, 8
	s_addc_u32 s13, s13, 0
	s_cmp_lt_i32 s27, s18
	s_cbranch_scc0 .LBB3_227
.LBB3_221:                              ;   Parent Loop BB3_218 Depth=1
                                        ; =>  This Loop Header: Depth=2
                                        ;       Child Loop BB3_224 Depth 3
                                        ;         Child Loop BB3_226 Depth 4
	s_sub_i32 s28, s27, s4
	v_cmp_ge_i32_e32 vcc, s28, v0
	s_and_saveexec_b64 s[14:15], vcc
	s_cbranch_execz .LBB3_220
; %bb.222:                              ;   in Loop: Header=BB3_221 Depth=2
	s_mul_i32 s0, s27, s21
	s_ashr_i32 s1, s0, 31
	s_lshl_b64 s[0:1], s[0:1], 3
	s_add_u32 s29, s19, s0
	s_addc_u32 s0, s26, s1
	s_mov_b64 s[16:17], 0
	v_mov_b32_e32 v15, s0
	v_pk_mov_b32 v[6:7], v[4:5], v[4:5] op_sel:[0,1]
	v_mov_b32_e32 v2, v0
	s_branch .LBB3_224
.LBB3_223:                              ;   in Loop: Header=BB3_224 Depth=3
	v_lshlrev_b64 v[10:11], 3, v[2:3]
	v_add_co_u32_e32 v10, vcc, s29, v10
	v_addc_co_u32_e32 v11, vcc, v15, v11, vcc
	global_load_dwordx2 v[16:17], v[10:11], off
	v_add_u32_e32 v2, 0x100, v2
	v_add_co_u32_e32 v6, vcc, 0x800, v6
	v_cmp_lt_i32_e64 s[0:1], s28, v2
	s_or_b64 s[16:17], s[0:1], s[16:17]
	v_addc_co_u32_e32 v7, vcc, 0, v7, vcc
	s_waitcnt vmcnt(0)
	v_add_f64 v[8:9], v[16:17], -v[8:9]
	global_store_dwordx2 v[10:11], v[8:9], off
	s_andn2_b64 exec, exec, s[16:17]
	s_cbranch_execz .LBB3_220
.LBB3_224:                              ;   Parent Loop BB3_218 Depth=1
                                        ;     Parent Loop BB3_221 Depth=2
                                        ; =>    This Loop Header: Depth=3
                                        ;         Child Loop BB3_226 Depth 4
	v_pk_mov_b32 v[8:9], 0, 0
	s_andn2_b64 vcc, exec, s[6:7]
	s_cbranch_vccnz .LBB3_223
; %bb.225:                              ;   in Loop: Header=BB3_224 Depth=3
	v_pk_mov_b32 v[10:11], v[6:7], v[6:7] op_sel:[0,1]
	s_mov_b64 s[0:1], s[12:13]
	s_mov_b32 s30, s3
.LBB3_226:                              ;   Parent Loop BB3_218 Depth=1
                                        ;     Parent Loop BB3_221 Depth=2
                                        ;       Parent Loop BB3_224 Depth=3
                                        ; =>      This Inner Loop Header: Depth=4
	global_load_dwordx2 v[16:17], v[10:11], off
	global_load_dwordx2 v[18:19], v3, s[0:1]
	s_add_i32 s30, s30, -1
	s_add_u32 s0, s0, s8
	v_add_co_u32_e32 v10, vcc, s10, v10
	s_addc_u32 s1, s1, s9
	v_addc_co_u32_e32 v11, vcc, v11, v14, vcc
	s_cmp_eq_u32 s30, 0
	s_waitcnt vmcnt(0)
	v_fmac_f64_e32 v[8:9], v[16:17], v[18:19]
	s_cbranch_scc0 .LBB3_226
	s_branch .LBB3_223
.LBB3_227:                              ;   in Loop: Header=BB3_218 Depth=1
	s_mul_i32 s11, s11, s4
	v_cmp_gt_i32_e32 vcc, s11, v0
	s_and_saveexec_b64 s[0:1], vcc
	s_cbranch_execz .LBB3_217
; %bb.228:                              ;   in Loop: Header=BB3_218 Depth=1
	s_lshl_b64 s[12:13], s[4:5], 3
	s_add_u32 s14, s34, s12
	s_mul_i32 s12, s4, s21
	s_addc_u32 s15, s35, s13
	s_ashr_i32 s13, s12, 31
	s_lshl_b64 s[12:13], s[12:13], 3
	s_add_u32 s16, s20, s12
	s_addc_u32 s17, s33, s13
	s_abs_i32 s18, s4
	v_cvt_f32_u32_e32 v2, s18
	s_sub_i32 s26, 0, s18
	s_mov_b64 s[12:13], 0
	s_ashr_i32 s19, s4, 31
	v_rcp_iflag_f32_e32 v2, v2
	v_mov_b32_e32 v11, v0
	v_mul_f32_e32 v2, 0x4f7ffffe, v2
	v_cvt_u32_f32_e32 v2, v2
	v_mul_lo_u32 v4, s26, v2
	v_mul_hi_u32 v4, v2, v4
	v_add_u32_e32 v10, v2, v4
	s_branch .LBB3_230
.LBB3_229:                              ;   in Loop: Header=BB3_230 Depth=2
	v_mad_u64_u32 v[6:7], s[26:27], v15, s21, v[2:3]
	v_ashrrev_i32_e32 v7, 31, v6
	v_lshlrev_b64 v[6:7], 3, v[6:7]
	v_mov_b32_e32 v2, s17
	v_add_co_u32_e32 v6, vcc, s16, v6
	v_addc_co_u32_e32 v7, vcc, v2, v7, vcc
	global_load_dwordx2 v[8:9], v[6:7], off
	v_add_u32_e32 v11, 0x100, v11
	v_cmp_le_i32_e32 vcc, s11, v11
	s_or_b64 s[12:13], vcc, s[12:13]
	s_waitcnt vmcnt(0)
	v_add_f64 v[4:5], v[8:9], -v[4:5]
	global_store_dwordx2 v[6:7], v[4:5], off
	s_andn2_b64 exec, exec, s[12:13]
	s_cbranch_execz .LBB3_217
.LBB3_230:                              ;   Parent Loop BB3_218 Depth=1
                                        ; =>  This Loop Header: Depth=2
                                        ;       Child Loop BB3_232 Depth 3
	v_mul_hi_u32 v2, v11, v10
	v_mul_lo_u32 v4, v2, s18
	v_sub_u32_e32 v4, v11, v4
	v_add_u32_e32 v5, 1, v2
	v_cmp_le_u32_e32 vcc, s18, v4
	v_cndmask_b32_e32 v2, v2, v5, vcc
	v_subrev_u32_e32 v5, s18, v4
	v_cndmask_b32_e32 v4, v4, v5, vcc
	v_add_u32_e32 v5, 1, v2
	v_cmp_le_u32_e32 vcc, s18, v4
	v_cndmask_b32_e32 v2, v2, v5, vcc
	v_xor_b32_e32 v2, s19, v2
	v_subrev_u32_e32 v15, s19, v2
	v_mul_lo_u32 v2, v15, s4
	s_andn2_b64 vcc, exec, s[6:7]
	v_sub_u32_e32 v2, v11, v2
	v_pk_mov_b32 v[4:5], 0, 0
	s_cbranch_vccnz .LBB3_229
; %bb.231:                              ;   in Loop: Header=BB3_230 Depth=2
	v_mov_b32_e32 v6, v2
	v_mov_b32_e32 v8, v15
	s_mov_b32 s26, s3
.LBB3_232:                              ;   Parent Loop BB3_218 Depth=1
                                        ;     Parent Loop BB3_230 Depth=2
                                        ; =>    This Inner Loop Header: Depth=3
	v_ashrrev_i32_e32 v7, 31, v6
	v_lshlrev_b64 v[16:17], 3, v[6:7]
	v_mov_b32_e32 v7, s37
	v_add_co_u32_e32 v16, vcc, s36, v16
	v_ashrrev_i32_e32 v9, 31, v8
	v_addc_co_u32_e32 v17, vcc, v7, v17, vcc
	v_lshlrev_b64 v[18:19], 3, v[8:9]
	v_mov_b32_e32 v7, s15
	v_add_co_u32_e32 v18, vcc, s14, v18
	v_addc_co_u32_e32 v19, vcc, v7, v19, vcc
	global_load_dwordx2 v[16:17], v[16:17], off
	s_add_i32 s26, s26, -1
	global_load_dwordx2 v[18:19], v[18:19], off
	v_add_u32_e32 v8, s22, v8
	s_cmp_eq_u32 s26, 0
	v_add_u32_e32 v6, s21, v6
	s_waitcnt vmcnt(0)
	v_fmac_f64_e32 v[4:5], v[16:17], v[18:19]
	s_cbranch_scc0 .LBB3_232
	s_branch .LBB3_229
.LBB3_233:
	s_cmp_ge_i32 s2, s56
	s_waitcnt lgkmcnt(0)
	s_barrier
	s_cbranch_scc1 .LBB3_241
; %bb.234:
	s_lshl_b32 s6, s21, 8
	v_mov_b32_e32 v2, 0
	s_branch .LBB3_237
.LBB3_235:                              ;   in Loop: Header=BB3_237 Depth=1
	s_or_b64 exec, exec, s[0:1]
	s_barrier
.LBB3_236:                              ;   in Loop: Header=BB3_237 Depth=1
	s_cmp_lt_i32 s3, s56
	s_mov_b32 s2, s3
	s_cbranch_scc0 .LBB3_241
.LBB3_237:                              ; =>This Loop Header: Depth=1
                                        ;     Child Loop BB3_240 Depth 2
	s_ashr_i32 s3, s2, 31
	s_lshl_b64 s[0:1], s[2:3], 2
	s_add_u32 s0, s54, s0
	s_addc_u32 s1, s55, s1
	global_load_dword v3, v2, s[0:1]
	s_waitcnt vmcnt(0)
	v_readfirstlane_b32 s0, v3
	s_not_b32 s1, s0
	s_add_i32 s3, s0, -1
	s_cmp_lt_i32 s0, 0
	s_cselect_b32 s7, s1, s3
	s_lshr_b32 s0, s0, 31
	s_add_i32 s4, s2, s0
	s_add_i32 s3, s4, 1
	s_cmp_eq_u32 s7, s2
	s_cselect_b64 s[0:1], -1, 0
	s_cmp_le_i32 s22, s3
	s_cselect_b64 s[8:9], -1, 0
	s_or_b64 s[0:1], s[0:1], s[8:9]
	s_and_b64 vcc, exec, s[0:1]
	s_cbranch_vccnz .LBB3_236
; %bb.238:                              ;   in Loop: Header=BB3_237 Depth=1
	s_sub_i32 s8, s22, s3
	v_cmp_gt_i32_e32 vcc, s8, v0
	s_and_saveexec_b64 s[0:1], vcc
	s_cbranch_execz .LBB3_235
; %bb.239:                              ;   in Loop: Header=BB3_237 Depth=1
	v_add_u32_e32 v3, s4, v1
	v_mul_lo_u32 v3, s21, v3
	s_mov_b64 s[4:5], 0
	v_mov_b32_e32 v4, v0
.LBB3_240:                              ;   Parent Loop BB3_237 Depth=1
                                        ; =>  This Inner Loop Header: Depth=2
	v_add_u32_e32 v6, s7, v3
	v_ashrrev_i32_e32 v7, 31, v6
	v_add_u32_e32 v8, s2, v3
	v_lshlrev_b64 v[6:7], 3, v[6:7]
	v_mov_b32_e32 v5, s33
	v_ashrrev_i32_e32 v9, 31, v8
	v_add_co_u32_e32 v6, vcc, s20, v6
	v_lshlrev_b64 v[8:9], 3, v[8:9]
	v_addc_co_u32_e32 v7, vcc, v5, v7, vcc
	v_mov_b32_e32 v10, s33
	v_add_co_u32_e32 v8, vcc, s20, v8
	v_addc_co_u32_e32 v9, vcc, v10, v9, vcc
	global_load_dwordx2 v[10:11], v[8:9], off
	global_load_dwordx2 v[12:13], v[6:7], off
	v_add_u32_e32 v4, 0x100, v4
	v_cmp_le_i32_e32 vcc, s8, v4
	v_add_u32_e32 v3, s6, v3
	s_or_b64 s[4:5], vcc, s[4:5]
	s_waitcnt vmcnt(1)
	global_store_dwordx2 v[6:7], v[10:11], off
	s_waitcnt vmcnt(1)
	global_store_dwordx2 v[8:9], v[12:13], off
	s_andn2_b64 exec, exec, s[4:5]
	s_cbranch_execnz .LBB3_240
	s_branch .LBB3_235
.LBB3_241:
	s_endpgm
	.section	.rodata,"a",@progbits
	.p2align	6, 0x0
	.amdhsa_kernel _ZN9rocsolver6v33100L18lasyf_kernel_upperIdPdEEviiPiT0_iilS3_lS3_PT_
		.amdhsa_group_segment_fixed_size 3104
		.amdhsa_private_segment_fixed_size 0
		.amdhsa_kernarg_size 72
		.amdhsa_user_sgpr_count 6
		.amdhsa_user_sgpr_private_segment_buffer 1
		.amdhsa_user_sgpr_dispatch_ptr 0
		.amdhsa_user_sgpr_queue_ptr 0
		.amdhsa_user_sgpr_kernarg_segment_ptr 1
		.amdhsa_user_sgpr_dispatch_id 0
		.amdhsa_user_sgpr_flat_scratch_init 0
		.amdhsa_user_sgpr_kernarg_preload_length 0
		.amdhsa_user_sgpr_kernarg_preload_offset 0
		.amdhsa_user_sgpr_private_segment_size 0
		.amdhsa_uses_dynamic_stack 0
		.amdhsa_system_sgpr_private_segment_wavefront_offset 0
		.amdhsa_system_sgpr_workgroup_id_x 1
		.amdhsa_system_sgpr_workgroup_id_y 1
		.amdhsa_system_sgpr_workgroup_id_z 0
		.amdhsa_system_sgpr_workgroup_info 0
		.amdhsa_system_vgpr_workitem_id 0
		.amdhsa_next_free_vgpr 45
		.amdhsa_next_free_sgpr 83
		.amdhsa_accum_offset 48
		.amdhsa_reserve_vcc 1
		.amdhsa_reserve_flat_scratch 0
		.amdhsa_float_round_mode_32 0
		.amdhsa_float_round_mode_16_64 0
		.amdhsa_float_denorm_mode_32 3
		.amdhsa_float_denorm_mode_16_64 3
		.amdhsa_dx10_clamp 1
		.amdhsa_ieee_mode 1
		.amdhsa_fp16_overflow 0
		.amdhsa_tg_split 0
		.amdhsa_exception_fp_ieee_invalid_op 0
		.amdhsa_exception_fp_denorm_src 0
		.amdhsa_exception_fp_ieee_div_zero 0
		.amdhsa_exception_fp_ieee_overflow 0
		.amdhsa_exception_fp_ieee_underflow 0
		.amdhsa_exception_fp_ieee_inexact 0
		.amdhsa_exception_int_div_zero 0
	.end_amdhsa_kernel
	.section	.text._ZN9rocsolver6v33100L18lasyf_kernel_upperIdPdEEviiPiT0_iilS3_lS3_PT_,"axG",@progbits,_ZN9rocsolver6v33100L18lasyf_kernel_upperIdPdEEviiPiT0_iilS3_lS3_PT_,comdat
.Lfunc_end3:
	.size	_ZN9rocsolver6v33100L18lasyf_kernel_upperIdPdEEviiPiT0_iilS3_lS3_PT_, .Lfunc_end3-_ZN9rocsolver6v33100L18lasyf_kernel_upperIdPdEEviiPiT0_iilS3_lS3_PT_
                                        ; -- End function
	.section	.AMDGPU.csdata,"",@progbits
; Kernel info:
; codeLenInByte = 9616
; NumSgprs: 87
; NumVgprs: 45
; NumAgprs: 0
; TotalNumVgprs: 45
; ScratchSize: 0
; MemoryBound: 0
; FloatMode: 240
; IeeeMode: 1
; LDSByteSize: 3104 bytes/workgroup (compile time only)
; SGPRBlocks: 10
; VGPRBlocks: 5
; NumSGPRsForWavesPerEU: 87
; NumVGPRsForWavesPerEU: 45
; AccumOffset: 48
; Occupancy: 8
; WaveLimiterHint : 1
; COMPUTE_PGM_RSRC2:SCRATCH_EN: 0
; COMPUTE_PGM_RSRC2:USER_SGPR: 6
; COMPUTE_PGM_RSRC2:TRAP_HANDLER: 0
; COMPUTE_PGM_RSRC2:TGID_X_EN: 1
; COMPUTE_PGM_RSRC2:TGID_Y_EN: 1
; COMPUTE_PGM_RSRC2:TGID_Z_EN: 0
; COMPUTE_PGM_RSRC2:TIDIG_COMP_CNT: 0
; COMPUTE_PGM_RSRC3_GFX90A:ACCUM_OFFSET: 11
; COMPUTE_PGM_RSRC3_GFX90A:TG_SPLIT: 0
	.section	.text._ZN9rocsolver6v33100L18lasyf_kernel_lowerIdPdEEviiPiT0_iilS3_lS3_PT_,"axG",@progbits,_ZN9rocsolver6v33100L18lasyf_kernel_lowerIdPdEEviiPiT0_iilS3_lS3_PT_,comdat
	.globl	_ZN9rocsolver6v33100L18lasyf_kernel_lowerIdPdEEviiPiT0_iilS3_lS3_PT_ ; -- Begin function _ZN9rocsolver6v33100L18lasyf_kernel_lowerIdPdEEviiPiT0_iilS3_lS3_PT_
	.p2align	8
	.type	_ZN9rocsolver6v33100L18lasyf_kernel_lowerIdPdEEviiPiT0_iilS3_lS3_PT_,@function
_ZN9rocsolver6v33100L18lasyf_kernel_lowerIdPdEEviiPiT0_iilS3_lS3_PT_: ; @_ZN9rocsolver6v33100L18lasyf_kernel_lowerIdPdEEviiPiT0_iilS3_lS3_PT_
; %bb.0:
	s_mov_b32 s34, s7
	v_cmp_eq_u32_e64 s[0:1], 0, v0
	s_and_saveexec_b64 s[2:3], s[0:1]
	s_cbranch_execz .LBB4_2
; %bb.1:
	v_mov_b32_e32 v1, 0
	ds_write_b32 v1, v1 offset:3100
.LBB4_2:
	s_or_b64 exec, exec, s[2:3]
	s_load_dwordx2 s[20:21], s[4:5], 0x18
	s_load_dwordx2 s[22:23], s[4:5], 0x0
	s_load_dwordx4 s[16:19], s[4:5], 0x8
	s_load_dwordx8 s[8:15], s[4:5], 0x20
	s_load_dwordx2 s[26:27], s[4:5], 0x40
	s_ashr_i32 s35, s34, 31
	s_waitcnt lgkmcnt(0)
	s_ashr_i32 s3, s20, 31
	s_mov_b32 s2, s20
	s_mul_i32 s4, s34, s9
	s_mul_hi_u32 s5, s34, s8
	s_add_i32 s4, s5, s4
	s_mul_i32 s5, s35, s8
	s_add_i32 s5, s4, s5
	s_mul_i32 s4, s34, s8
	s_lshl_b64 s[28:29], s[4:5], 3
	s_add_u32 s4, s18, s28
	s_addc_u32 s5, s19, s29
	s_lshl_b64 s[30:31], s[2:3], 3
	s_mul_i32 s2, s34, s22
	s_add_u32 s20, s4, s30
	s_mul_i32 s2, s2, s23
	s_addc_u32 s33, s5, s31
	s_ashr_i32 s3, s2, 31
	s_lshl_b64 s[36:37], s[2:3], 3
	s_add_u32 s24, s26, s36
	s_mul_i32 s2, s34, s13
	s_mul_hi_u32 s3, s34, s12
	s_addc_u32 s25, s27, s37
	s_add_i32 s2, s3, s2
	s_mul_i32 s3, s35, s12
	s_add_i32 s3, s2, s3
	s_mul_i32 s2, s34, s12
	s_lshl_b64 s[2:3], s[2:3], 2
	s_add_u32 s62, s10, s2
	s_addc_u32 s63, s11, s3
	s_cmp_lt_i32 s22, 1
	v_lshlrev_b32_e32 v9, 3, v0
	v_mul_lo_u32 v30, v0, s21
	s_cbranch_scc1 .LBB4_242
; %bb.3:
	s_add_i32 s64, s23, -1
	s_cmp_eq_u32 s23, s22
	s_cselect_b64 s[38:39], -1, 0
	s_add_i32 s65, s22, -1
	s_add_i32 s66, s21, 1
	s_add_i32 s67, s22, -2
	s_add_i32 s68, s22, 1
	s_add_u32 s69, s20, -8
	s_addc_u32 s70, s33, -1
	s_add_u32 s71, s26, s36
	s_addc_u32 s72, s27, s37
	s_add_u32 s6, s28, s30
	s_addc_u32 s7, s29, s31
	;; [unrolled: 2-line block ×3, first 2 shown]
	v_mov_b32_e32 v33, s74
	v_add_co_u32_e32 v34, vcc, s73, v9
	s_mov_b32 s7, 0
	s_mov_b32 s6, s22
	v_addc_co_u32_e32 v35, vcc, 0, v33, vcc
	s_lshl_b64 s[40:41], s[6:7], 3
	s_ashr_i32 s7, s21, 31
	s_mov_b32 s6, s21
	v_mov_b32_e32 v36, s72
	v_add_co_u32_e32 v37, vcc, s71, v9
	s_lshl_b64 s[42:43], s[6:7], 3
	v_addc_co_u32_e32 v38, vcc, 0, v36, vcc
	s_lshl_b32 s6, s22, 8
	v_mov_b32_e32 v1, 0x800
	s_movk_i32 s2, 0x80
	v_add_u32_e32 v32, 2, v0
	v_add_co_u32_e32 v39, vcc, 8, v37
	v_mul_lo_u32 v8, v0, s22
	s_ashr_i32 s7, s6, 31
	v_mov_b32_e32 v11, 0
	s_mov_b32 s48, 0x66afed07
	v_lshl_or_b32 v31, v0, 2, v1
	v_cmp_gt_u32_e64 s[2:3], s2, v0
	v_cmp_gt_u32_e64 s[4:5], 64, v0
	v_addc_co_u32_e32 v40, vcc, 0, v38, vcc
	s_lshl_b32 s75, s21, 8
	v_mul_lo_u32 v41, v0, s21
	v_ashrrev_i32_e32 v1, 31, v8
	s_lshl_b64 s[44:45], s[6:7], 3
	v_add_u32_e32 v42, s21, v32
	s_mov_b64 s[46:47], 0
	s_brev_b32 s76, -2
	s_mov_b32 s49, 0x3fe47e0f
	s_movk_i32 s77, 0x800
	v_mov_b32_e32 v6, v11
                                        ; implicit-def: $sgpr50_sgpr51
	s_branch .LBB4_6
.LBB4_4:                                ;   in Loop: Header=BB4_6 Depth=1
	s_or_b64 exec, exec, s[6:7]
	v_add_u32_e32 v6, v5, v6
	v_cmp_le_i32_e32 vcc, s22, v6
	s_andn2_b64 s[6:7], s[50:51], exec
	s_and_b64 s[8:9], vcc, exec
	s_or_b64 s[50:51], s[6:7], s[8:9]
.LBB4_5:                                ;   in Loop: Header=BB4_6 Depth=1
	s_or_b64 exec, exec, s[52:53]
	s_and_b64 s[6:7], exec, s[50:51]
	s_or_b64 s[46:47], s[6:7], s[46:47]
	s_andn2_b64 exec, exec, s[46:47]
	s_cbranch_execz .LBB4_210
.LBB4_6:                                ; =>This Loop Header: Depth=1
                                        ;     Child Loop BB4_11 Depth 2
                                        ;     Child Loop BB4_16 Depth 2
                                        ;       Child Loop BB4_18 Depth 3
                                        ;     Child Loop BB4_22 Depth 2
                                        ;     Child Loop BB4_64 Depth 2
	;; [unrolled: 1-line block ×4, first 2 shown]
                                        ;       Child Loop BB4_76 Depth 3
                                        ;     Child Loop BB4_81 Depth 2
                                        ;     Child Loop BB4_122 Depth 2
	;; [unrolled: 1-line block ×9, first 2 shown]
	v_cmp_gt_i32_e32 vcc, s64, v6
	s_or_b64 s[6:7], s[38:39], vcc
	s_or_b64 s[50:51], s[50:51], exec
	s_and_saveexec_b64 s[52:53], s[6:7]
	s_cbranch_execz .LBB4_5
; %bb.7:                                ;   in Loop: Header=BB4_6 Depth=1
	v_sub_u32_e32 v27, s22, v6
	v_cmp_gt_i32_e64 s[8:9], v27, v0
	v_cmp_le_i32_e32 vcc, v27, v0
	v_mul_lo_u32 v12, v6, s22
	s_and_saveexec_b64 s[6:7], vcc
	s_xor_b64 s[6:7], exec, s[6:7]
; %bb.8:                                ;   in Loop: Header=BB4_6 Depth=1
	v_mul_lo_u32 v12, v6, s22
; %bb.9:                                ;   in Loop: Header=BB4_6 Depth=1
	s_andn2_saveexec_b64 s[6:7], s[6:7]
	s_cbranch_execz .LBB4_13
; %bb.10:                               ;   in Loop: Header=BB4_6 Depth=1
	s_waitcnt vmcnt(0)
	v_mad_u64_u32 v[2:3], s[10:11], s68, v6, v[0:1]
	v_mov_b32_e32 v3, v11
	v_lshlrev_b64 v[2:3], 3, v[2:3]
	v_mad_u64_u32 v[4:5], s[10:11], s66, v6, v[0:1]
	v_add_co_u32_e32 v2, vcc, s71, v2
	v_ashrrev_i32_e32 v5, 31, v4
	v_addc_co_u32_e32 v3, vcc, v36, v3, vcc
	v_lshlrev_b64 v[4:5], 3, v[4:5]
	v_add_co_u32_e32 v4, vcc, s73, v4
	v_addc_co_u32_e32 v5, vcc, v33, v5, vcc
	s_mov_b64 s[10:11], 0
	v_mov_b32_e32 v7, v0
.LBB4_11:                               ;   Parent Loop BB4_6 Depth=1
                                        ; =>  This Inner Loop Header: Depth=2
	global_load_dwordx2 v[14:15], v[4:5], off
	v_add_u32_e32 v7, 0x100, v7
	v_cmp_ge_i32_e32 vcc, v7, v27
	s_or_b64 s[10:11], vcc, s[10:11]
	s_waitcnt vmcnt(0)
	global_store_dwordx2 v[2:3], v[14:15], off
	v_add_co_u32_e32 v2, vcc, 0x800, v2
	v_addc_co_u32_e32 v3, vcc, 0, v3, vcc
	v_add_co_u32_e32 v4, vcc, 0x800, v4
	v_addc_co_u32_e32 v5, vcc, 0, v5, vcc
	s_andn2_b64 exec, exec, s[10:11]
	s_cbranch_execnz .LBB4_11
; %bb.12:                               ;   in Loop: Header=BB4_6 Depth=1
	s_or_b64 exec, exec, s[10:11]
.LBB4_13:                               ;   in Loop: Header=BB4_6 Depth=1
	s_or_b64 exec, exec, s[6:7]
	v_mov_b32_e32 v7, v11
	v_lshlrev_b64 v[14:15], 3, v[6:7]
	s_waitcnt vmcnt(0)
	v_mov_b32_e32 v2, s25
	v_add_co_u32_e32 v18, vcc, s24, v14
	v_ashrrev_i32_e32 v13, 31, v12
	v_addc_co_u32_e32 v19, vcc, v2, v15, vcc
	v_lshlrev_b64 v[4:5], 3, v[12:13]
	v_add_co_u32_e32 v16, vcc, v18, v4
	v_addc_co_u32_e32 v17, vcc, v19, v5, vcc
	s_barrier
	s_and_saveexec_b64 s[12:13], s[8:9]
	s_cbranch_execz .LBB4_20
; %bb.14:                               ;   in Loop: Header=BB4_6 Depth=1
	v_add_co_u32_e32 v2, vcc, v34, v14
	v_cmp_ne_u32_e64 s[6:7], 0, v6
	v_addc_co_u32_e32 v3, vcc, v35, v15, vcc
	s_mov_b64 s[54:55], 0
	v_mov_b32_e32 v10, v0
	s_branch .LBB4_16
.LBB4_15:                               ;   in Loop: Header=BB4_16 Depth=2
	s_or_b64 exec, exec, s[56:57]
	v_lshlrev_b64 v[22:23], 3, v[10:11]
	v_add_co_u32_e32 v22, vcc, v16, v22
	v_addc_co_u32_e32 v23, vcc, v17, v23, vcc
	global_load_dwordx2 v[24:25], v[22:23], off
	v_add_u32_e32 v10, 0x100, v10
	v_add_co_u32_e32 v2, vcc, 0x800, v2
	v_cmp_ge_i32_e64 s[10:11], v10, v27
	s_or_b64 s[54:55], s[10:11], s[54:55]
	v_addc_co_u32_e32 v3, vcc, 0, v3, vcc
	s_waitcnt vmcnt(0)
	v_add_f64 v[20:21], v[24:25], -v[20:21]
	global_store_dwordx2 v[22:23], v[20:21], off
	s_andn2_b64 exec, exec, s[54:55]
	s_cbranch_execz .LBB4_20
.LBB4_16:                               ;   Parent Loop BB4_6 Depth=1
                                        ; =>  This Loop Header: Depth=2
                                        ;       Child Loop BB4_18 Depth 3
	v_pk_mov_b32 v[20:21], 0, 0
	s_and_saveexec_b64 s[56:57], s[6:7]
	s_cbranch_execz .LBB4_15
; %bb.17:                               ;   in Loop: Header=BB4_16 Depth=2
	s_mov_b64 s[58:59], 0
	v_pk_mov_b32 v[20:21], 0, 0
	v_pk_mov_b32 v[22:23], v[2:3], v[2:3] op_sel:[0,1]
	v_pk_mov_b32 v[24:25], v[18:19], v[18:19] op_sel:[0,1]
	v_mov_b32_e32 v13, v6
.LBB4_18:                               ;   Parent Loop BB4_6 Depth=1
                                        ;     Parent Loop BB4_16 Depth=2
                                        ; =>    This Inner Loop Header: Depth=3
	global_load_dwordx2 v[28:29], v[22:23], off
	global_load_dwordx2 v[44:45], v[24:25], off
	v_mov_b32_e32 v43, s43
	v_add_co_u32_e32 v22, vcc, s42, v22
	v_add_u32_e32 v13, -1, v13
	v_addc_co_u32_e32 v23, vcc, v23, v43, vcc
	v_mov_b32_e32 v26, s41
	v_add_co_u32_e64 v24, s[10:11], s40, v24
	v_cmp_eq_u32_e32 vcc, 0, v13
	v_addc_co_u32_e64 v25, s[10:11], v25, v26, s[10:11]
	s_or_b64 s[58:59], vcc, s[58:59]
	s_waitcnt vmcnt(0)
	v_fmac_f64_e32 v[20:21], v[28:29], v[44:45]
	s_andn2_b64 exec, exec, s[58:59]
	s_cbranch_execnz .LBB4_18
; %bb.19:                               ;   in Loop: Header=BB4_16 Depth=2
	s_or_b64 exec, exec, s[58:59]
	s_branch .LBB4_15
.LBB4_20:                               ;   in Loop: Header=BB4_6 Depth=1
	s_or_b64 exec, exec, s[12:13]
	v_add_u32_e32 v26, -1, v27
	v_cmp_gt_i32_e64 s[6:7], v26, v0
	v_bfrev_b32_e32 v10, -2
	v_pk_mov_b32 v[2:3], 0, 0
	s_barrier
	s_and_saveexec_b64 s[12:13], s[6:7]
	s_cbranch_execz .LBB4_24
; %bb.21:                               ;   in Loop: Header=BB4_6 Depth=1
	v_add_co_u32_e32 v2, vcc, v4, v14
	v_addc_co_u32_e32 v3, vcc, v5, v15, vcc
	v_add_co_u32_e32 v4, vcc, v39, v2
	v_addc_co_u32_e32 v5, vcc, v40, v3, vcc
	s_mov_b64 s[54:55], 0
	v_bfrev_b32_e32 v10, -2
	v_pk_mov_b32 v[2:3], 0, 0
	v_mov_b32_e32 v13, v0
.LBB4_22:                               ;   Parent Loop BB4_6 Depth=1
                                        ; =>  This Inner Loop Header: Depth=2
	global_load_dwordx2 v[20:21], v[4:5], off
	v_add_co_u32_e32 v4, vcc, 0x800, v4
	v_cmp_eq_u32_e64 s[10:11], s76, v10
	v_add_u32_e32 v22, 1, v13
	v_add_u32_e32 v13, 0x100, v13
	v_addc_co_u32_e32 v5, vcc, 0, v5, vcc
	v_cmp_ge_i32_e32 vcc, v13, v26
	s_waitcnt vmcnt(0)
	v_cmp_lt_f64_e64 s[56:57], v[2:3], |v[20:21]|
	v_and_b32_e32 v23, 0x7fffffff, v21
	s_or_b64 s[10:11], s[56:57], s[10:11]
	v_cndmask_b32_e64 v3, v3, v23, s[10:11]
	v_cndmask_b32_e64 v2, v2, v20, s[10:11]
	s_or_b64 s[54:55], vcc, s[54:55]
	v_cndmask_b32_e64 v10, v10, v22, s[10:11]
	s_andn2_b64 exec, exec, s[54:55]
	s_cbranch_execnz .LBB4_22
; %bb.23:                               ;   in Loop: Header=BB4_6 Depth=1
	s_or_b64 exec, exec, s[54:55]
.LBB4_24:                               ;   in Loop: Header=BB4_6 Depth=1
	s_or_b64 exec, exec, s[12:13]
	v_cmp_lt_i32_e32 vcc, 2, v27
	ds_write_b64 v9, v[2:3]
	ds_write_b32 v31, v10
	s_waitcnt lgkmcnt(0)
	s_barrier
	s_and_saveexec_b64 s[54:55], vcc
	s_cbranch_execz .LBB4_58
; %bb.25:                               ;   in Loop: Header=BB4_6 Depth=1
	s_and_saveexec_b64 s[12:13], s[2:3]
	s_cbranch_execz .LBB4_31
; %bb.26:                               ;   in Loop: Header=BB4_6 Depth=1
	ds_read_b64 v[4:5], v9 offset:1024
	ds_read_b32 v13, v31 offset:512
	s_waitcnt lgkmcnt(1)
	v_cmp_lt_f64_e64 s[56:57], v[2:3], v[4:5]
	v_cmp_nlt_f64_e32 vcc, v[2:3], v[4:5]
	s_and_saveexec_b64 s[58:59], vcc
	s_cbranch_execz .LBB4_28
; %bb.27:                               ;   in Loop: Header=BB4_6 Depth=1
	v_cmp_eq_f64_e32 vcc, v[2:3], v[4:5]
	s_waitcnt lgkmcnt(0)
	v_cmp_gt_i32_e64 s[10:11], v10, v13
	s_and_b64 s[10:11], vcc, s[10:11]
	s_andn2_b64 s[56:57], s[56:57], exec
	s_and_b64 s[10:11], s[10:11], exec
	s_or_b64 s[56:57], s[56:57], s[10:11]
.LBB4_28:                               ;   in Loop: Header=BB4_6 Depth=1
	s_or_b64 exec, exec, s[58:59]
	s_and_saveexec_b64 s[10:11], s[56:57]
	s_cbranch_execz .LBB4_30
; %bb.29:                               ;   in Loop: Header=BB4_6 Depth=1
	s_waitcnt lgkmcnt(0)
	v_mov_b32_e32 v10, v13
	v_pk_mov_b32 v[2:3], v[4:5], v[4:5] op_sel:[0,1]
	ds_write_b64 v9, v[4:5]
	ds_write_b32 v31, v13
.LBB4_30:                               ;   in Loop: Header=BB4_6 Depth=1
	s_or_b64 exec, exec, s[10:11]
.LBB4_31:                               ;   in Loop: Header=BB4_6 Depth=1
	s_or_b64 exec, exec, s[12:13]
	s_waitcnt lgkmcnt(0)
	s_barrier
	s_and_b64 exec, exec, s[4:5]
	s_cbranch_execz .LBB4_58
; %bb.32:                               ;   in Loop: Header=BB4_6 Depth=1
	ds_read_b64 v[4:5], v9 offset:512
	ds_read_b32 v13, v31 offset:256
	s_waitcnt lgkmcnt(1)
	v_cmp_lt_f64_e64 s[12:13], v[2:3], v[4:5]
	v_cmp_nlt_f64_e32 vcc, v[2:3], v[4:5]
	s_and_saveexec_b64 s[56:57], vcc
	s_cbranch_execz .LBB4_34
; %bb.33:                               ;   in Loop: Header=BB4_6 Depth=1
	v_cmp_eq_f64_e32 vcc, v[2:3], v[4:5]
	s_waitcnt lgkmcnt(0)
	v_cmp_gt_i32_e64 s[10:11], v10, v13
	s_and_b64 s[10:11], vcc, s[10:11]
	s_andn2_b64 s[12:13], s[12:13], exec
	s_and_b64 s[10:11], s[10:11], exec
	s_or_b64 s[12:13], s[12:13], s[10:11]
.LBB4_34:                               ;   in Loop: Header=BB4_6 Depth=1
	s_or_b64 exec, exec, s[56:57]
	s_and_saveexec_b64 s[10:11], s[12:13]
	s_cbranch_execz .LBB4_36
; %bb.35:                               ;   in Loop: Header=BB4_6 Depth=1
	v_pk_mov_b32 v[2:3], v[4:5], v[4:5] op_sel:[0,1]
	s_waitcnt lgkmcnt(0)
	v_mov_b32_e32 v10, v13
	ds_write_b64 v9, v[4:5]
	ds_write_b32 v31, v13
.LBB4_36:                               ;   in Loop: Header=BB4_6 Depth=1
	s_or_b64 exec, exec, s[10:11]
	ds_read_b64 v[4:5], v9 offset:256
	s_waitcnt lgkmcnt(1)
	ds_read_b32 v13, v31 offset:128
	s_waitcnt lgkmcnt(1)
	v_cmp_lt_f64_e64 s[12:13], v[2:3], v[4:5]
	v_cmp_nlt_f64_e32 vcc, v[2:3], v[4:5]
	s_and_saveexec_b64 s[56:57], vcc
	s_cbranch_execz .LBB4_38
; %bb.37:                               ;   in Loop: Header=BB4_6 Depth=1
	v_cmp_eq_f64_e32 vcc, v[2:3], v[4:5]
	s_waitcnt lgkmcnt(0)
	v_cmp_gt_i32_e64 s[10:11], v10, v13
	s_and_b64 s[10:11], vcc, s[10:11]
	s_andn2_b64 s[12:13], s[12:13], exec
	s_and_b64 s[10:11], s[10:11], exec
	s_or_b64 s[12:13], s[12:13], s[10:11]
.LBB4_38:                               ;   in Loop: Header=BB4_6 Depth=1
	s_or_b64 exec, exec, s[56:57]
	s_and_saveexec_b64 s[10:11], s[12:13]
	s_cbranch_execz .LBB4_40
; %bb.39:                               ;   in Loop: Header=BB4_6 Depth=1
	v_pk_mov_b32 v[2:3], v[4:5], v[4:5] op_sel:[0,1]
	s_waitcnt lgkmcnt(0)
	v_mov_b32_e32 v10, v13
	ds_write_b64 v9, v[4:5]
	ds_write_b32 v31, v13
.LBB4_40:                               ;   in Loop: Header=BB4_6 Depth=1
	s_or_b64 exec, exec, s[10:11]
	ds_read_b64 v[4:5], v9 offset:128
	s_waitcnt lgkmcnt(1)
	;; [unrolled: 28-line block ×6, first 2 shown]
	ds_read_b32 v13, v31 offset:4
	s_waitcnt lgkmcnt(1)
	v_cmp_eq_f64_e64 s[10:11], v[2:3], v[4:5]
	s_waitcnt lgkmcnt(0)
	v_cmp_gt_i32_e64 s[12:13], v10, v13
	v_cmp_lt_f64_e32 vcc, v[2:3], v[4:5]
	s_and_b64 s[10:11], s[10:11], s[12:13]
	s_or_b64 s[10:11], vcc, s[10:11]
	s_and_b64 exec, exec, s[10:11]
	s_cbranch_execz .LBB4_58
; %bb.57:                               ;   in Loop: Header=BB4_6 Depth=1
	ds_write_b64 v9, v[4:5]
	ds_write_b32 v31, v13
.LBB4_58:                               ;   in Loop: Header=BB4_6 Depth=1
	s_or_b64 exec, exec, s[54:55]
	s_and_saveexec_b64 s[10:11], s[0:1]
	s_cbranch_execz .LBB4_60
; %bb.59:                               ;   in Loop: Header=BB4_6 Depth=1
	global_load_dwordx2 v[2:3], v[16:17], off
	ds_read_b32 v10, v11 offset:2048
	ds_read_b64 v[4:5], v11
	s_waitcnt lgkmcnt(1)
	v_add_u32_e32 v10, v10, v6
	ds_write_b32 v11, v10 offset:3096
	s_waitcnt vmcnt(0)
	v_and_b32_e32 v3, 0x7fffffff, v3
	s_waitcnt lgkmcnt(1)
	ds_write_b128 v11, v[2:5] offset:3072
.LBB4_60:                               ;   in Loop: Header=BB4_6 Depth=1
	s_or_b64 exec, exec, s[10:11]
	s_waitcnt lgkmcnt(0)
	s_barrier
	ds_read_b128 v[2:5], v11 offset:3072
	v_add_u32_e32 v43, 1, v6
	s_waitcnt lgkmcnt(0)
	v_cmp_lt_f64_e32 vcc, v[2:3], v[4:5]
	v_cndmask_b32_e32 v21, v3, v5, vcc
	v_cndmask_b32_e32 v20, v2, v4, vcc
	v_cmp_neq_f64_e32 vcc, 0, v[20:21]
	s_cbranch_vccz .LBB4_78
; %bb.61:                               ;   in Loop: Header=BB4_6 Depth=1
	v_mul_f64 v[4:5], v[4:5], s[48:49]
	v_cmp_ge_f64_e32 vcc, v[2:3], v[4:5]
	s_cbranch_vccnz .LBB4_169
; %bb.62:                               ;   in Loop: Header=BB4_6 Depth=1
	ds_read_b32 v10, v11 offset:3096
	s_waitcnt lgkmcnt(0)
	v_sub_u32_e32 v13, v10, v6
	v_cmp_gt_i32_e32 vcc, v13, v0
	s_and_saveexec_b64 s[10:11], vcc
	s_cbranch_execz .LBB4_65
; %bb.63:                               ;   in Loop: Header=BB4_6 Depth=1
	v_add_u32_e32 v4, v0, v6
	v_mad_u64_u32 v[2:3], s[12:13], v43, s22, v[4:5]
	v_ashrrev_i32_e32 v3, 31, v2
	v_lshlrev_b64 v[2:3], 3, v[2:3]
	v_mov_b32_e32 v5, s72
	v_add_co_u32_e32 v2, vcc, s71, v2
	v_mul_lo_u32 v4, s21, v4
	v_addc_co_u32_e32 v3, vcc, v5, v3, vcc
	v_add_u32_e32 v4, v10, v4
	s_mov_b64 s[12:13], 0
	v_mov_b32_e32 v20, v0
.LBB4_64:                               ;   Parent Loop BB4_6 Depth=1
                                        ; =>  This Inner Loop Header: Depth=2
	v_ashrrev_i32_e32 v5, 31, v4
	v_lshlrev_b64 v[22:23], 3, v[4:5]
	v_mov_b32_e32 v21, s33
	v_add_co_u32_e32 v22, vcc, s20, v22
	v_addc_co_u32_e32 v23, vcc, v21, v23, vcc
	global_load_dwordx2 v[22:23], v[22:23], off
	v_add_u32_e32 v20, 0x100, v20
	v_cmp_ge_i32_e32 vcc, v20, v13
	s_or_b64 s[12:13], vcc, s[12:13]
	v_add_u32_e32 v4, s75, v4
	s_waitcnt vmcnt(0)
	global_store_dwordx2 v[2:3], v[22:23], off
	v_add_co_u32_e32 v2, vcc, 0x800, v2
	v_addc_co_u32_e32 v3, vcc, 0, v3, vcc
	s_andn2_b64 exec, exec, s[12:13]
	s_cbranch_execnz .LBB4_64
.LBB4_65:                               ;   in Loop: Header=BB4_6 Depth=1
	s_or_b64 exec, exec, s[10:11]
	v_sub_u32_e32 v3, s22, v10
	v_cmp_le_i32_e32 vcc, v3, v0
                                        ; implicit-def: $vgpr2
	s_and_saveexec_b64 s[10:11], vcc
	s_xor_b64 s[10:11], exec, s[10:11]
; %bb.66:                               ;   in Loop: Header=BB4_6 Depth=1
	v_mul_lo_u32 v2, v43, s22
                                        ; implicit-def: $vgpr3
                                        ; implicit-def: $vgpr10
; %bb.67:                               ;   in Loop: Header=BB4_6 Depth=1
	s_andn2_saveexec_b64 s[10:11], s[10:11]
	s_cbranch_execz .LBB4_71
; %bb.68:                               ;   in Loop: Header=BB4_6 Depth=1
	v_mul_lo_u32 v2, v43, s22
	v_add3_u32 v4, v0, v10, v2
	v_ashrrev_i32_e32 v5, 31, v4
	v_mul_lo_u32 v10, s66, v10
	v_lshlrev_b64 v[4:5], 3, v[4:5]
	v_add_u32_e32 v20, v0, v10
	v_mov_b32_e32 v13, s72
	v_add_co_u32_e32 v4, vcc, s71, v4
	v_ashrrev_i32_e32 v21, 31, v20
	v_addc_co_u32_e32 v5, vcc, v13, v5, vcc
	v_lshlrev_b64 v[20:21], 3, v[20:21]
	v_mov_b32_e32 v10, s74
	v_add_co_u32_e32 v20, vcc, s73, v20
	v_addc_co_u32_e32 v21, vcc, v10, v21, vcc
	s_mov_b64 s[12:13], 0
	v_mov_b32_e32 v10, v0
.LBB4_69:                               ;   Parent Loop BB4_6 Depth=1
                                        ; =>  This Inner Loop Header: Depth=2
	global_load_dwordx2 v[22:23], v[20:21], off
	v_add_u32_e32 v10, 0x100, v10
	v_cmp_ge_i32_e32 vcc, v10, v3
	s_or_b64 s[12:13], vcc, s[12:13]
	s_waitcnt vmcnt(0)
	global_store_dwordx2 v[4:5], v[22:23], off
	v_add_co_u32_e32 v4, vcc, 0x800, v4
	v_addc_co_u32_e32 v5, vcc, 0, v5, vcc
	v_add_co_u32_e32 v20, vcc, 0x800, v20
	v_addc_co_u32_e32 v21, vcc, 0, v21, vcc
	s_andn2_b64 exec, exec, s[12:13]
	s_cbranch_execnz .LBB4_69
; %bb.70:                               ;   in Loop: Header=BB4_6 Depth=1
	s_or_b64 exec, exec, s[12:13]
.LBB4_71:                               ;   in Loop: Header=BB4_6 Depth=1
	s_or_b64 exec, exec, s[10:11]
	v_ashrrev_i32_e32 v3, 31, v2
	s_barrier
	s_and_saveexec_b64 s[54:55], s[8:9]
	s_cbranch_execz .LBB4_79
; %bb.72:                               ;   in Loop: Header=BB4_6 Depth=1
	ds_read_b32 v4, v11 offset:3096
	v_mov_b32_e32 v10, s25
	v_lshlrev_b64 v[20:21], 3, v[2:3]
	v_cmp_ne_u32_e64 s[10:11], 0, v6
	s_mov_b64 s[56:57], 0
	s_waitcnt lgkmcnt(0)
	v_ashrrev_i32_e32 v5, 31, v4
	v_lshlrev_b64 v[4:5], 3, v[4:5]
	v_add_co_u32_e32 v4, vcc, s24, v4
	v_addc_co_u32_e32 v5, vcc, v10, v5, vcc
	v_add_co_u32_e32 v13, vcc, v18, v20
	v_addc_co_u32_e32 v28, vcc, v19, v21, vcc
	;; [unrolled: 2-line block ×3, first 2 shown]
	v_mov_b32_e32 v10, v0
	s_branch .LBB4_74
.LBB4_73:                               ;   in Loop: Header=BB4_74 Depth=2
	s_or_b64 exec, exec, s[58:59]
	v_lshlrev_b64 v[22:23], 3, v[10:11]
	v_add_co_u32_e32 v22, vcc, v13, v22
	v_addc_co_u32_e32 v23, vcc, v28, v23, vcc
	global_load_dwordx2 v[24:25], v[22:23], off
	v_add_u32_e32 v10, 0x100, v10
	v_add_co_u32_e32 v18, vcc, 0x800, v18
	v_cmp_ge_i32_e64 s[12:13], v10, v27
	s_or_b64 s[56:57], s[12:13], s[56:57]
	v_addc_co_u32_e32 v19, vcc, 0, v19, vcc
	s_waitcnt vmcnt(0)
	v_add_f64 v[20:21], v[24:25], -v[20:21]
	global_store_dwordx2 v[22:23], v[20:21], off
	s_andn2_b64 exec, exec, s[56:57]
	s_cbranch_execz .LBB4_79
.LBB4_74:                               ;   Parent Loop BB4_6 Depth=1
                                        ; =>  This Loop Header: Depth=2
                                        ;       Child Loop BB4_76 Depth 3
	v_pk_mov_b32 v[20:21], 0, 0
	s_and_saveexec_b64 s[58:59], s[10:11]
	s_cbranch_execz .LBB4_73
; %bb.75:                               ;   in Loop: Header=BB4_74 Depth=2
	s_mov_b64 s[60:61], 0
	v_pk_mov_b32 v[20:21], 0, 0
	v_pk_mov_b32 v[22:23], v[18:19], v[18:19] op_sel:[0,1]
	v_pk_mov_b32 v[24:25], v[4:5], v[4:5] op_sel:[0,1]
	v_mov_b32_e32 v29, v6
.LBB4_76:                               ;   Parent Loop BB4_6 Depth=1
                                        ;     Parent Loop BB4_74 Depth=2
                                        ; =>    This Inner Loop Header: Depth=3
	global_load_dwordx2 v[44:45], v[22:23], off
	global_load_dwordx2 v[46:47], v[24:25], off
	v_mov_b32_e32 v49, s43
	v_add_co_u32_e32 v22, vcc, s42, v22
	v_add_u32_e32 v29, -1, v29
	v_addc_co_u32_e32 v23, vcc, v23, v49, vcc
	v_mov_b32_e32 v48, s41
	v_add_co_u32_e64 v24, s[12:13], s40, v24
	v_cmp_eq_u32_e32 vcc, 0, v29
	v_addc_co_u32_e64 v25, s[12:13], v25, v48, s[12:13]
	s_or_b64 s[60:61], vcc, s[60:61]
	s_waitcnt vmcnt(0)
	v_fmac_f64_e32 v[20:21], v[44:45], v[46:47]
	s_andn2_b64 exec, exec, s[60:61]
	s_cbranch_execnz .LBB4_76
; %bb.77:                               ;   in Loop: Header=BB4_74 Depth=2
	s_or_b64 exec, exec, s[60:61]
	s_branch .LBB4_73
.LBB4_78:                               ;   in Loop: Header=BB4_6 Depth=1
                                        ; implicit-def: $sgpr8_sgpr9
                                        ; implicit-def: $vgpr4
                                        ; implicit-def: $vgpr5
	s_cbranch_execnz .LBB4_202
	s_branch .LBB4_205
.LBB4_79:                               ;   in Loop: Header=BB4_6 Depth=1
	s_or_b64 exec, exec, s[54:55]
	s_barrier
	ds_read_b32 v4, v11 offset:3096
	v_bfrev_b32_e32 v10, -2
	s_waitcnt lgkmcnt(0)
	v_sub_u32_e32 v13, v4, v6
	v_cmp_gt_i32_e32 vcc, v13, v0
	v_pk_mov_b32 v[4:5], 0, 0
	s_and_saveexec_b64 s[12:13], vcc
	s_cbranch_execz .LBB4_83
; %bb.80:                               ;   in Loop: Header=BB4_6 Depth=1
	v_lshlrev_b64 v[4:5], 3, v[2:3]
	v_add_co_u32_e32 v4, vcc, v4, v14
	v_addc_co_u32_e32 v5, vcc, v5, v15, vcc
	v_add_co_u32_e32 v18, vcc, v37, v4
	v_addc_co_u32_e32 v19, vcc, v38, v5, vcc
	s_mov_b64 s[54:55], 0
	v_bfrev_b32_e32 v10, -2
	v_pk_mov_b32 v[4:5], 0, 0
	v_mov_b32_e32 v20, v0
.LBB4_81:                               ;   Parent Loop BB4_6 Depth=1
                                        ; =>  This Inner Loop Header: Depth=2
	global_load_dwordx2 v[22:23], v[18:19], off
	v_add_co_u32_e32 v18, vcc, 0x800, v18
	v_cmp_eq_u32_e64 s[10:11], s76, v10
	v_add_u32_e32 v21, 1, v20
	v_add_u32_e32 v20, 0x100, v20
	v_addc_co_u32_e32 v19, vcc, 0, v19, vcc
	v_cmp_ge_i32_e32 vcc, v20, v13
	s_waitcnt vmcnt(0)
	v_cmp_lt_f64_e64 s[56:57], v[4:5], |v[22:23]|
	v_and_b32_e32 v24, 0x7fffffff, v23
	s_or_b64 s[10:11], s[56:57], s[10:11]
	v_cndmask_b32_e64 v5, v5, v24, s[10:11]
	v_cndmask_b32_e64 v4, v4, v22, s[10:11]
	s_or_b64 s[54:55], vcc, s[54:55]
	v_cndmask_b32_e64 v10, v10, v21, s[10:11]
	s_andn2_b64 exec, exec, s[54:55]
	s_cbranch_execnz .LBB4_81
; %bb.82:                               ;   in Loop: Header=BB4_6 Depth=1
	s_or_b64 exec, exec, s[54:55]
.LBB4_83:                               ;   in Loop: Header=BB4_6 Depth=1
	s_or_b64 exec, exec, s[12:13]
	v_cmp_lt_i32_e32 vcc, 1, v13
	ds_write_b64 v9, v[4:5]
	ds_write_b32 v31, v10
	s_waitcnt lgkmcnt(0)
	s_barrier
	s_and_saveexec_b64 s[54:55], vcc
	s_cbranch_execz .LBB4_117
; %bb.84:                               ;   in Loop: Header=BB4_6 Depth=1
	s_and_saveexec_b64 s[12:13], s[2:3]
	s_cbranch_execz .LBB4_90
; %bb.85:                               ;   in Loop: Header=BB4_6 Depth=1
	ds_read_b64 v[18:19], v9 offset:1024
	ds_read_b32 v13, v31 offset:512
	s_waitcnt lgkmcnt(1)
	v_cmp_lt_f64_e64 s[56:57], v[4:5], v[18:19]
	v_cmp_nlt_f64_e32 vcc, v[4:5], v[18:19]
	s_and_saveexec_b64 s[58:59], vcc
	s_cbranch_execz .LBB4_87
; %bb.86:                               ;   in Loop: Header=BB4_6 Depth=1
	v_cmp_eq_f64_e32 vcc, v[4:5], v[18:19]
	s_waitcnt lgkmcnt(0)
	v_cmp_gt_i32_e64 s[10:11], v10, v13
	s_and_b64 s[10:11], vcc, s[10:11]
	s_andn2_b64 s[56:57], s[56:57], exec
	s_and_b64 s[10:11], s[10:11], exec
	s_or_b64 s[56:57], s[56:57], s[10:11]
.LBB4_87:                               ;   in Loop: Header=BB4_6 Depth=1
	s_or_b64 exec, exec, s[58:59]
	s_and_saveexec_b64 s[10:11], s[56:57]
	s_cbranch_execz .LBB4_89
; %bb.88:                               ;   in Loop: Header=BB4_6 Depth=1
	s_waitcnt lgkmcnt(0)
	v_mov_b32_e32 v10, v13
	v_pk_mov_b32 v[4:5], v[18:19], v[18:19] op_sel:[0,1]
	ds_write_b64 v9, v[18:19]
	ds_write_b32 v31, v13
.LBB4_89:                               ;   in Loop: Header=BB4_6 Depth=1
	s_or_b64 exec, exec, s[10:11]
.LBB4_90:                               ;   in Loop: Header=BB4_6 Depth=1
	s_or_b64 exec, exec, s[12:13]
	s_waitcnt lgkmcnt(0)
	s_barrier
	s_and_b64 exec, exec, s[4:5]
	s_cbranch_execz .LBB4_117
; %bb.91:                               ;   in Loop: Header=BB4_6 Depth=1
	ds_read_b64 v[18:19], v9 offset:512
	ds_read_b32 v13, v31 offset:256
	s_waitcnt lgkmcnt(1)
	v_cmp_lt_f64_e64 s[12:13], v[4:5], v[18:19]
	v_cmp_nlt_f64_e32 vcc, v[4:5], v[18:19]
	s_and_saveexec_b64 s[56:57], vcc
	s_cbranch_execz .LBB4_93
; %bb.92:                               ;   in Loop: Header=BB4_6 Depth=1
	v_cmp_eq_f64_e32 vcc, v[4:5], v[18:19]
	s_waitcnt lgkmcnt(0)
	v_cmp_gt_i32_e64 s[10:11], v10, v13
	s_and_b64 s[10:11], vcc, s[10:11]
	s_andn2_b64 s[12:13], s[12:13], exec
	s_and_b64 s[10:11], s[10:11], exec
	s_or_b64 s[12:13], s[12:13], s[10:11]
.LBB4_93:                               ;   in Loop: Header=BB4_6 Depth=1
	s_or_b64 exec, exec, s[56:57]
	s_and_saveexec_b64 s[10:11], s[12:13]
	s_cbranch_execz .LBB4_95
; %bb.94:                               ;   in Loop: Header=BB4_6 Depth=1
	v_pk_mov_b32 v[4:5], v[18:19], v[18:19] op_sel:[0,1]
	s_waitcnt lgkmcnt(0)
	v_mov_b32_e32 v10, v13
	ds_write_b64 v9, v[18:19]
	ds_write_b32 v31, v13
.LBB4_95:                               ;   in Loop: Header=BB4_6 Depth=1
	s_or_b64 exec, exec, s[10:11]
	ds_read_b64 v[18:19], v9 offset:256
	s_waitcnt lgkmcnt(1)
	ds_read_b32 v13, v31 offset:128
	s_waitcnt lgkmcnt(1)
	v_cmp_lt_f64_e64 s[12:13], v[4:5], v[18:19]
	v_cmp_nlt_f64_e32 vcc, v[4:5], v[18:19]
	s_and_saveexec_b64 s[56:57], vcc
	s_cbranch_execz .LBB4_97
; %bb.96:                               ;   in Loop: Header=BB4_6 Depth=1
	v_cmp_eq_f64_e32 vcc, v[4:5], v[18:19]
	s_waitcnt lgkmcnt(0)
	v_cmp_gt_i32_e64 s[10:11], v10, v13
	s_and_b64 s[10:11], vcc, s[10:11]
	s_andn2_b64 s[12:13], s[12:13], exec
	s_and_b64 s[10:11], s[10:11], exec
	s_or_b64 s[12:13], s[12:13], s[10:11]
.LBB4_97:                               ;   in Loop: Header=BB4_6 Depth=1
	s_or_b64 exec, exec, s[56:57]
	s_and_saveexec_b64 s[10:11], s[12:13]
	s_cbranch_execz .LBB4_99
; %bb.98:                               ;   in Loop: Header=BB4_6 Depth=1
	v_pk_mov_b32 v[4:5], v[18:19], v[18:19] op_sel:[0,1]
	s_waitcnt lgkmcnt(0)
	v_mov_b32_e32 v10, v13
	ds_write_b64 v9, v[18:19]
	ds_write_b32 v31, v13
.LBB4_99:                               ;   in Loop: Header=BB4_6 Depth=1
	s_or_b64 exec, exec, s[10:11]
	ds_read_b64 v[18:19], v9 offset:128
	s_waitcnt lgkmcnt(1)
	ds_read_b32 v13, v31 offset:64
	s_waitcnt lgkmcnt(1)
	v_cmp_lt_f64_e64 s[12:13], v[4:5], v[18:19]
	v_cmp_nlt_f64_e32 vcc, v[4:5], v[18:19]
	s_and_saveexec_b64 s[56:57], vcc
	s_cbranch_execz .LBB4_101
; %bb.100:                              ;   in Loop: Header=BB4_6 Depth=1
	v_cmp_eq_f64_e32 vcc, v[4:5], v[18:19]
	s_waitcnt lgkmcnt(0)
	v_cmp_gt_i32_e64 s[10:11], v10, v13
	s_and_b64 s[10:11], vcc, s[10:11]
	s_andn2_b64 s[12:13], s[12:13], exec
	s_and_b64 s[10:11], s[10:11], exec
	s_or_b64 s[12:13], s[12:13], s[10:11]
.LBB4_101:                              ;   in Loop: Header=BB4_6 Depth=1
	s_or_b64 exec, exec, s[56:57]
	s_and_saveexec_b64 s[10:11], s[12:13]
	s_cbranch_execz .LBB4_103
; %bb.102:                              ;   in Loop: Header=BB4_6 Depth=1
	v_pk_mov_b32 v[4:5], v[18:19], v[18:19] op_sel:[0,1]
	s_waitcnt lgkmcnt(0)
	v_mov_b32_e32 v10, v13
	ds_write_b64 v9, v[18:19]
	ds_write_b32 v31, v13
.LBB4_103:                              ;   in Loop: Header=BB4_6 Depth=1
	s_or_b64 exec, exec, s[10:11]
	ds_read_b64 v[18:19], v9 offset:64
	s_waitcnt lgkmcnt(1)
	ds_read_b32 v13, v31 offset:32
	s_waitcnt lgkmcnt(1)
	v_cmp_lt_f64_e64 s[12:13], v[4:5], v[18:19]
	v_cmp_nlt_f64_e32 vcc, v[4:5], v[18:19]
	s_and_saveexec_b64 s[56:57], vcc
	s_cbranch_execz .LBB4_105
; %bb.104:                              ;   in Loop: Header=BB4_6 Depth=1
	v_cmp_eq_f64_e32 vcc, v[4:5], v[18:19]
	s_waitcnt lgkmcnt(0)
	v_cmp_gt_i32_e64 s[10:11], v10, v13
	s_and_b64 s[10:11], vcc, s[10:11]
	s_andn2_b64 s[12:13], s[12:13], exec
	s_and_b64 s[10:11], s[10:11], exec
	s_or_b64 s[12:13], s[12:13], s[10:11]
.LBB4_105:                              ;   in Loop: Header=BB4_6 Depth=1
	s_or_b64 exec, exec, s[56:57]
	s_and_saveexec_b64 s[10:11], s[12:13]
	s_cbranch_execz .LBB4_107
; %bb.106:                              ;   in Loop: Header=BB4_6 Depth=1
	v_pk_mov_b32 v[4:5], v[18:19], v[18:19] op_sel:[0,1]
	s_waitcnt lgkmcnt(0)
	v_mov_b32_e32 v10, v13
	ds_write_b64 v9, v[18:19]
	ds_write_b32 v31, v13
.LBB4_107:                              ;   in Loop: Header=BB4_6 Depth=1
	;; [unrolled: 28-line block ×4, first 2 shown]
	s_or_b64 exec, exec, s[10:11]
	ds_read_b64 v[18:19], v9 offset:8
	s_waitcnt lgkmcnt(1)
	ds_read_b32 v13, v31 offset:4
	s_waitcnt lgkmcnt(1)
	v_cmp_eq_f64_e64 s[10:11], v[4:5], v[18:19]
	s_waitcnt lgkmcnt(0)
	v_cmp_gt_i32_e64 s[12:13], v10, v13
	v_cmp_lt_f64_e32 vcc, v[4:5], v[18:19]
	s_and_b64 s[10:11], s[10:11], s[12:13]
	s_or_b64 s[10:11], vcc, s[10:11]
	s_and_b64 exec, exec, s[10:11]
	s_cbranch_execz .LBB4_117
; %bb.116:                              ;   in Loop: Header=BB4_6 Depth=1
	ds_write_b64 v9, v[18:19]
	ds_write_b32 v31, v13
.LBB4_117:                              ;   in Loop: Header=BB4_6 Depth=1
	s_or_b64 exec, exec, s[54:55]
	s_and_saveexec_b64 s[10:11], s[0:1]
	s_cbranch_execz .LBB4_119
; %bb.118:                              ;   in Loop: Header=BB4_6 Depth=1
	ds_read_b64 v[4:5], v11
	s_waitcnt lgkmcnt(0)
	ds_write_b64 v11, v[4:5] offset:3088
.LBB4_119:                              ;   in Loop: Header=BB4_6 Depth=1
	s_or_b64 exec, exec, s[10:11]
	ds_read_b32 v4, v11 offset:3096
	s_waitcnt lgkmcnt(0)
	v_cmp_le_i32_e32 vcc, s65, v4
	v_readfirstlane_b32 s10, v4
	s_cbranch_vccnz .LBB4_162
; %bb.120:                              ;   in Loop: Header=BB4_6 Depth=1
	s_not_b32 s56, s10
	s_add_i32 s56, s56, s22
	v_cmp_gt_i32_e32 vcc, s56, v0
	v_bfrev_b32_e32 v10, -2
	v_pk_mov_b32 v[4:5], 0, 0
	s_and_saveexec_b64 s[12:13], vcc
	s_cbranch_execz .LBB4_124
; %bb.121:                              ;   in Loop: Header=BB4_6 Depth=1
	s_ashr_i32 s11, s10, 31
	v_lshlrev_b64 v[4:5], 3, v[2:3]
	s_lshl_b64 s[10:11], s[10:11], 3
	v_mov_b32_e32 v3, s11
	v_add_co_u32_e32 v4, vcc, s10, v4
	v_addc_co_u32_e32 v3, vcc, v5, v3, vcc
	v_add_co_u32_e32 v18, vcc, v39, v4
	v_addc_co_u32_e32 v19, vcc, v40, v3, vcc
	s_mov_b64 s[54:55], 0
	v_bfrev_b32_e32 v10, -2
	v_pk_mov_b32 v[4:5], 0, 0
	v_mov_b32_e32 v3, v0
.LBB4_122:                              ;   Parent Loop BB4_6 Depth=1
                                        ; =>  This Inner Loop Header: Depth=2
	global_load_dwordx2 v[20:21], v[18:19], off
	v_add_co_u32_e32 v18, vcc, 0x800, v18
	v_cmp_eq_u32_e64 s[10:11], s76, v10
	v_add_u32_e32 v13, 1, v3
	v_add_u32_e32 v3, 0x100, v3
	v_addc_co_u32_e32 v19, vcc, 0, v19, vcc
	v_cmp_le_i32_e32 vcc, s56, v3
	s_waitcnt vmcnt(0)
	v_cmp_lt_f64_e64 s[58:59], v[4:5], |v[20:21]|
	v_and_b32_e32 v22, 0x7fffffff, v21
	s_or_b64 s[10:11], s[58:59], s[10:11]
	v_cndmask_b32_e64 v5, v5, v22, s[10:11]
	v_cndmask_b32_e64 v4, v4, v20, s[10:11]
	s_or_b64 s[54:55], vcc, s[54:55]
	v_cndmask_b32_e64 v10, v10, v13, s[10:11]
	s_andn2_b64 exec, exec, s[54:55]
	s_cbranch_execnz .LBB4_122
; %bb.123:                              ;   in Loop: Header=BB4_6 Depth=1
	s_or_b64 exec, exec, s[54:55]
.LBB4_124:                              ;   in Loop: Header=BB4_6 Depth=1
	s_or_b64 exec, exec, s[12:13]
	s_cmp_lt_i32 s56, 2
	ds_write_b64 v9, v[4:5]
	ds_write_b32 v31, v10
	s_waitcnt lgkmcnt(0)
	s_barrier
	s_cbranch_scc1 .LBB4_159
; %bb.125:                              ;   in Loop: Header=BB4_6 Depth=1
	s_and_saveexec_b64 s[12:13], s[2:3]
	s_cbranch_execz .LBB4_131
; %bb.126:                              ;   in Loop: Header=BB4_6 Depth=1
	ds_read_b64 v[18:19], v9 offset:1024
	ds_read_b32 v3, v31 offset:512
	s_waitcnt lgkmcnt(1)
	v_cmp_lt_f64_e64 s[54:55], v[4:5], v[18:19]
	v_cmp_nlt_f64_e32 vcc, v[4:5], v[18:19]
	s_and_saveexec_b64 s[56:57], vcc
	s_cbranch_execz .LBB4_128
; %bb.127:                              ;   in Loop: Header=BB4_6 Depth=1
	v_cmp_eq_f64_e32 vcc, v[4:5], v[18:19]
	s_waitcnt lgkmcnt(0)
	v_cmp_gt_i32_e64 s[10:11], v10, v3
	s_and_b64 s[10:11], vcc, s[10:11]
	s_andn2_b64 s[54:55], s[54:55], exec
	s_and_b64 s[10:11], s[10:11], exec
	s_or_b64 s[54:55], s[54:55], s[10:11]
.LBB4_128:                              ;   in Loop: Header=BB4_6 Depth=1
	s_or_b64 exec, exec, s[56:57]
	s_and_saveexec_b64 s[10:11], s[54:55]
	s_cbranch_execz .LBB4_130
; %bb.129:                              ;   in Loop: Header=BB4_6 Depth=1
	s_waitcnt lgkmcnt(0)
	v_mov_b32_e32 v10, v3
	v_pk_mov_b32 v[4:5], v[18:19], v[18:19] op_sel:[0,1]
	ds_write_b64 v9, v[18:19]
	ds_write_b32 v31, v3
.LBB4_130:                              ;   in Loop: Header=BB4_6 Depth=1
	s_or_b64 exec, exec, s[10:11]
.LBB4_131:                              ;   in Loop: Header=BB4_6 Depth=1
	s_or_b64 exec, exec, s[12:13]
	s_waitcnt lgkmcnt(0)
	s_barrier
	s_and_saveexec_b64 s[54:55], s[4:5]
	s_cbranch_execz .LBB4_158
; %bb.132:                              ;   in Loop: Header=BB4_6 Depth=1
	ds_read_b64 v[18:19], v9 offset:512
	ds_read_b32 v3, v31 offset:256
	s_waitcnt lgkmcnt(1)
	v_cmp_lt_f64_e64 s[12:13], v[4:5], v[18:19]
	v_cmp_nlt_f64_e32 vcc, v[4:5], v[18:19]
	s_and_saveexec_b64 s[56:57], vcc
	s_cbranch_execz .LBB4_134
; %bb.133:                              ;   in Loop: Header=BB4_6 Depth=1
	v_cmp_eq_f64_e32 vcc, v[4:5], v[18:19]
	s_waitcnt lgkmcnt(0)
	v_cmp_gt_i32_e64 s[10:11], v10, v3
	s_and_b64 s[10:11], vcc, s[10:11]
	s_andn2_b64 s[12:13], s[12:13], exec
	s_and_b64 s[10:11], s[10:11], exec
	s_or_b64 s[12:13], s[12:13], s[10:11]
.LBB4_134:                              ;   in Loop: Header=BB4_6 Depth=1
	s_or_b64 exec, exec, s[56:57]
	s_and_saveexec_b64 s[10:11], s[12:13]
	s_cbranch_execz .LBB4_136
; %bb.135:                              ;   in Loop: Header=BB4_6 Depth=1
	v_pk_mov_b32 v[4:5], v[18:19], v[18:19] op_sel:[0,1]
	s_waitcnt lgkmcnt(0)
	v_mov_b32_e32 v10, v3
	ds_write_b64 v9, v[18:19]
	ds_write_b32 v31, v3
.LBB4_136:                              ;   in Loop: Header=BB4_6 Depth=1
	s_or_b64 exec, exec, s[10:11]
	ds_read_b64 v[18:19], v9 offset:256
	s_waitcnt lgkmcnt(1)
	ds_read_b32 v3, v31 offset:128
	s_waitcnt lgkmcnt(1)
	v_cmp_lt_f64_e64 s[12:13], v[4:5], v[18:19]
	v_cmp_nlt_f64_e32 vcc, v[4:5], v[18:19]
	s_and_saveexec_b64 s[56:57], vcc
	s_cbranch_execz .LBB4_138
; %bb.137:                              ;   in Loop: Header=BB4_6 Depth=1
	v_cmp_eq_f64_e32 vcc, v[4:5], v[18:19]
	s_waitcnt lgkmcnt(0)
	v_cmp_gt_i32_e64 s[10:11], v10, v3
	s_and_b64 s[10:11], vcc, s[10:11]
	s_andn2_b64 s[12:13], s[12:13], exec
	s_and_b64 s[10:11], s[10:11], exec
	s_or_b64 s[12:13], s[12:13], s[10:11]
.LBB4_138:                              ;   in Loop: Header=BB4_6 Depth=1
	s_or_b64 exec, exec, s[56:57]
	s_and_saveexec_b64 s[10:11], s[12:13]
	s_cbranch_execz .LBB4_140
; %bb.139:                              ;   in Loop: Header=BB4_6 Depth=1
	v_pk_mov_b32 v[4:5], v[18:19], v[18:19] op_sel:[0,1]
	s_waitcnt lgkmcnt(0)
	v_mov_b32_e32 v10, v3
	ds_write_b64 v9, v[18:19]
	ds_write_b32 v31, v3
.LBB4_140:                              ;   in Loop: Header=BB4_6 Depth=1
	s_or_b64 exec, exec, s[10:11]
	ds_read_b64 v[18:19], v9 offset:128
	s_waitcnt lgkmcnt(1)
	;; [unrolled: 28-line block ×6, first 2 shown]
	ds_read_b32 v3, v31 offset:4
	s_waitcnt lgkmcnt(1)
	v_cmp_eq_f64_e64 s[10:11], v[4:5], v[18:19]
	s_waitcnt lgkmcnt(0)
	v_cmp_gt_i32_e64 s[12:13], v10, v3
	v_cmp_lt_f64_e32 vcc, v[4:5], v[18:19]
	s_and_b64 s[10:11], s[10:11], s[12:13]
	s_or_b64 s[10:11], vcc, s[10:11]
	s_and_b64 exec, exec, s[10:11]
	s_cbranch_execz .LBB4_158
; %bb.157:                              ;   in Loop: Header=BB4_6 Depth=1
	ds_write_b64 v9, v[18:19]
	ds_write_b32 v31, v3
.LBB4_158:                              ;   in Loop: Header=BB4_6 Depth=1
	s_or_b64 exec, exec, s[54:55]
.LBB4_159:                              ;   in Loop: Header=BB4_6 Depth=1
	s_and_saveexec_b64 s[10:11], s[0:1]
	s_cbranch_execz .LBB4_161
; %bb.160:                              ;   in Loop: Header=BB4_6 Depth=1
	ds_read_b64 v[4:5], v11 offset:3088
	ds_read_b64 v[18:19], v11
	s_waitcnt lgkmcnt(0)
	v_cmp_lt_f64_e32 vcc, v[4:5], v[18:19]
	v_cndmask_b32_e32 v5, v5, v19, vcc
	v_cndmask_b32_e32 v4, v4, v18, vcc
	ds_write_b64 v11, v[4:5] offset:3088
.LBB4_161:                              ;   in Loop: Header=BB4_6 Depth=1
	s_or_b64 exec, exec, s[10:11]
.LBB4_162:                              ;   in Loop: Header=BB4_6 Depth=1
	s_waitcnt lgkmcnt(0)
	s_barrier
	ds_read_b128 v[20:23], v11 offset:3072
	ds_read_b64 v[18:19], v11 offset:3088
	s_waitcnt lgkmcnt(1)
	v_mul_f64 v[28:29], v[22:23], s[48:49]
	s_waitcnt lgkmcnt(0)
	v_div_scale_f64 v[4:5], s[10:11], v[18:19], v[18:19], v[22:23]
	v_rcp_f64_e32 v[24:25], v[4:5]
	v_fma_f64 v[44:45], -v[4:5], v[24:25], 1.0
	v_fmac_f64_e32 v[24:25], v[24:25], v[44:45]
	v_fma_f64 v[44:45], -v[4:5], v[24:25], 1.0
	v_fmac_f64_e32 v[24:25], v[24:25], v[44:45]
	v_div_scale_f64 v[44:45], vcc, v[22:23], v[18:19], v[22:23]
	v_mul_f64 v[46:47], v[44:45], v[24:25]
	v_fma_f64 v[4:5], -v[4:5], v[46:47], v[44:45]
	s_nop 1
	v_div_fmas_f64 v[4:5], v[4:5], v[24:25], v[46:47]
	v_div_fixup_f64 v[4:5], v[4:5], v[18:19], v[22:23]
	v_mul_f64 v[4:5], v[28:29], v[4:5]
	v_cmp_ge_f64_e32 vcc, v[20:21], v[4:5]
	s_cbranch_vccnz .LBB4_169
; %bb.163:                              ;   in Loop: Header=BB4_6 Depth=1
	ds_read_b32 v4, v11 offset:3096
	v_mov_b32_e32 v3, s25
	v_mul_f64 v[18:19], v[18:19], s[48:49]
	s_mov_b64 s[10:11], 0
	v_mov_b32_e32 v5, 2
	s_waitcnt lgkmcnt(0)
	v_add_u32_e32 v20, v4, v2
	v_ashrrev_i32_e32 v21, 31, v20
	v_lshlrev_b64 v[20:21], 3, v[20:21]
	v_add_co_u32_e32 v20, vcc, s24, v20
	v_addc_co_u32_e32 v21, vcc, v3, v21, vcc
	global_load_dwordx2 v[20:21], v[20:21], off
	s_waitcnt vmcnt(0)
	v_cmp_ge_f64_e64 s[54:55], |v[20:21]|, v[18:19]
	s_and_saveexec_b64 s[12:13], s[54:55]
	s_cbranch_execz .LBB4_168
; %bb.164:                              ;   in Loop: Header=BB4_6 Depth=1
	s_and_saveexec_b64 s[10:11], s[8:9]
	s_cbranch_execz .LBB4_167
; %bb.165:                              ;   in Loop: Header=BB4_6 Depth=1
	v_add3_u32 v18, v0, v12, v6
	v_ashrrev_i32_e32 v19, 31, v18
	v_lshlrev_b64 v[18:19], 3, v[18:19]
	v_add3_u32 v2, v0, v2, v6
	v_mov_b32_e32 v5, s72
	v_add_co_u32_e32 v18, vcc, s71, v18
	v_ashrrev_i32_e32 v3, 31, v2
	v_addc_co_u32_e32 v19, vcc, v5, v19, vcc
	v_lshlrev_b64 v[2:3], 3, v[2:3]
	v_add_co_u32_e32 v2, vcc, s71, v2
	v_addc_co_u32_e32 v3, vcc, v5, v3, vcc
	s_mov_b64 s[8:9], 0
	v_mov_b32_e32 v5, v0
.LBB4_166:                              ;   Parent Loop BB4_6 Depth=1
                                        ; =>  This Inner Loop Header: Depth=2
	global_load_dwordx2 v[20:21], v[2:3], off
	v_add_u32_e32 v5, 0x100, v5
	v_cmp_ge_i32_e32 vcc, v5, v27
	s_or_b64 s[8:9], vcc, s[8:9]
	s_waitcnt vmcnt(0)
	global_store_dwordx2 v[18:19], v[20:21], off
	v_add_co_u32_e32 v18, vcc, 0x800, v18
	v_addc_co_u32_e32 v19, vcc, 0, v19, vcc
	v_add_co_u32_e32 v2, vcc, 0x800, v2
	v_addc_co_u32_e32 v3, vcc, 0, v3, vcc
	s_andn2_b64 exec, exec, s[8:9]
	s_cbranch_execnz .LBB4_166
.LBB4_167:                              ;   in Loop: Header=BB4_6 Depth=1
	s_or_b64 exec, exec, s[10:11]
	s_mov_b64 s[10:11], exec
	v_mov_b32_e32 v5, 1
	s_barrier
.LBB4_168:                              ;   in Loop: Header=BB4_6 Depth=1
	s_or_b64 exec, exec, s[12:13]
	s_branch .LBB4_170
.LBB4_169:                              ;   in Loop: Header=BB4_6 Depth=1
	s_mov_b64 s[10:11], -1
	v_mov_b32_e32 v5, 1
	v_mov_b32_e32 v4, v6
.LBB4_170:                              ;   in Loop: Header=BB4_6 Depth=1
	v_add_u32_e32 v2, v5, v6
	v_add_u32_e32 v3, -1, v2
	v_cmp_ne_u32_e32 vcc, v4, v3
	s_and_saveexec_b64 s[12:13], vcc
	s_cbranch_execz .LBB4_186
; %bb.171:                              ;   in Loop: Header=BB4_6 Depth=1
	s_and_saveexec_b64 s[8:9], s[0:1]
	s_cbranch_execz .LBB4_173
; %bb.172:                              ;   in Loop: Header=BB4_6 Depth=1
	v_mul_lo_u32 v18, v3, s66
	v_ashrrev_i32_e32 v19, 31, v18
	v_lshlrev_b64 v[18:19], 3, v[18:19]
	v_mov_b32_e32 v10, s33
	v_add_co_u32_e32 v18, vcc, s20, v18
	v_addc_co_u32_e32 v19, vcc, v10, v19, vcc
	global_load_dwordx2 v[18:19], v[18:19], off
	v_mul_lo_u32 v20, v4, s66
	v_ashrrev_i32_e32 v21, 31, v20
	v_lshlrev_b64 v[20:21], 3, v[20:21]
	v_add_co_u32_e32 v20, vcc, s20, v20
	v_addc_co_u32_e32 v21, vcc, v10, v21, vcc
	s_waitcnt vmcnt(0)
	global_store_dwordx2 v[20:21], v[18:19], off
.LBB4_173:                              ;   in Loop: Header=BB4_6 Depth=1
	s_or_b64 exec, exec, s[8:9]
	v_sub_u32_e32 v10, v4, v2
	v_cmp_gt_i32_e32 vcc, v10, v0
	s_and_saveexec_b64 s[54:55], vcc
	s_cbranch_execz .LBB4_176
; %bb.174:                              ;   in Loop: Header=BB4_6 Depth=1
	v_add3_u32 v13, v0, v5, v6
	v_mad_u64_u32 v[18:19], s[8:9], s21, v13, v[4:5]
	v_mad_u64_u32 v[20:21], s[8:9], v3, s21, v[2:3]
	s_mov_b64 s[56:57], 0
	v_mov_b32_e32 v13, v0
.LBB4_175:                              ;   Parent Loop BB4_6 Depth=1
                                        ; =>  This Inner Loop Header: Depth=2
	v_add_u32_e32 v22, v20, v13
	v_ashrrev_i32_e32 v23, 31, v22
	v_lshlrev_b64 v[22:23], 3, v[22:23]
	v_mov_b32_e32 v21, s33
	v_add_co_u32_e32 v22, vcc, s20, v22
	v_addc_co_u32_e32 v23, vcc, v21, v23, vcc
	global_load_dwordx2 v[22:23], v[22:23], off
	v_ashrrev_i32_e32 v19, 31, v18
	v_add_u32_e32 v13, 0x100, v13
	v_lshlrev_b64 v[24:25], 3, v[18:19]
	v_cmp_ge_i32_e32 vcc, v13, v10
	v_add_co_u32_e64 v24, s[8:9], s20, v24
	v_add_u32_e32 v18, s75, v18
	v_addc_co_u32_e64 v25, s[8:9], v21, v25, s[8:9]
	s_or_b64 s[56:57], vcc, s[56:57]
	s_waitcnt vmcnt(0)
	global_store_dwordx2 v[24:25], v[22:23], off
	s_andn2_b64 exec, exec, s[56:57]
	s_cbranch_execnz .LBB4_175
.LBB4_176:                              ;   in Loop: Header=BB4_6 Depth=1
	s_or_b64 exec, exec, s[54:55]
	v_xad_u32 v10, v4, -1, s22
	v_cmp_gt_i32_e32 vcc, v10, v0
	s_and_saveexec_b64 s[8:9], vcc
	s_cbranch_execz .LBB4_179
; %bb.177:                              ;   in Loop: Header=BB4_6 Depth=1
	v_mul_lo_u32 v3, v3, s21
	v_mad_u64_u32 v[18:19], s[54:55], s66, v4, 1
	v_add3_u32 v3, v4, v3, 1
	s_mov_b64 s[54:55], 0
	v_mov_b32_e32 v13, v0
.LBB4_178:                              ;   Parent Loop BB4_6 Depth=1
                                        ; =>  This Inner Loop Header: Depth=2
	v_add_u32_e32 v20, v3, v13
	v_ashrrev_i32_e32 v21, 31, v20
	v_lshlrev_b64 v[20:21], 3, v[20:21]
	v_mov_b32_e32 v19, s33
	v_add_co_u32_e32 v20, vcc, s20, v20
	v_addc_co_u32_e32 v21, vcc, v19, v21, vcc
	global_load_dwordx2 v[20:21], v[20:21], off
	v_add_u32_e32 v22, v18, v13
	v_add_u32_e32 v13, 0x100, v13
	v_ashrrev_i32_e32 v23, 31, v22
	v_cmp_ge_i32_e32 vcc, v13, v10
	v_lshlrev_b64 v[22:23], 3, v[22:23]
	s_or_b64 s[54:55], vcc, s[54:55]
	v_add_co_u32_e32 v22, vcc, s20, v22
	v_addc_co_u32_e32 v23, vcc, v19, v23, vcc
	s_waitcnt vmcnt(0)
	global_store_dwordx2 v[22:23], v[20:21], off
	s_andn2_b64 exec, exec, s[54:55]
	s_cbranch_execnz .LBB4_178
.LBB4_179:                              ;   in Loop: Header=BB4_6 Depth=1
	s_or_b64 exec, exec, s[8:9]
	v_cmp_gt_u32_e32 vcc, v6, v0
	s_barrier
	s_and_saveexec_b64 s[8:9], vcc
	s_cbranch_execz .LBB4_182
; %bb.180:                              ;   in Loop: Header=BB4_6 Depth=1
	v_ashrrev_i32_e32 v3, 31, v2
	s_mov_b64 s[54:55], 0
	v_mov_b32_e32 v10, v41
	v_mov_b32_e32 v13, v0
.LBB4_181:                              ;   Parent Loop BB4_6 Depth=1
                                        ; =>  This Inner Loop Header: Depth=2
	v_ashrrev_i32_e32 v19, 31, v10
	v_add_co_u32_e32 v20, vcc, v10, v2
	v_addc_co_u32_e32 v21, vcc, v19, v3, vcc
	v_add_u32_e32 v18, v4, v10
	v_lshlrev_b64 v[20:21], 3, v[20:21]
	v_mov_b32_e32 v22, s70
	v_ashrrev_i32_e32 v19, 31, v18
	v_add_co_u32_e32 v20, vcc, s69, v20
	v_lshlrev_b64 v[18:19], 3, v[18:19]
	v_addc_co_u32_e32 v21, vcc, v22, v21, vcc
	v_mov_b32_e32 v23, s33
	v_add_co_u32_e32 v18, vcc, s20, v18
	v_addc_co_u32_e32 v19, vcc, v23, v19, vcc
	global_load_dwordx2 v[22:23], v[18:19], off
	global_load_dwordx2 v[24:25], v[20:21], off
	v_add_u32_e32 v13, 0x100, v13
	v_cmp_ge_u32_e32 vcc, v13, v6
	v_add_u32_e32 v10, s75, v10
	s_or_b64 s[54:55], vcc, s[54:55]
	s_waitcnt vmcnt(1)
	global_store_dwordx2 v[20:21], v[22:23], off
	s_waitcnt vmcnt(1)
	global_store_dwordx2 v[18:19], v[24:25], off
	s_andn2_b64 exec, exec, s[54:55]
	s_cbranch_execnz .LBB4_181
.LBB4_182:                              ;   in Loop: Header=BB4_6 Depth=1
	s_or_b64 exec, exec, s[8:9]
	v_cmp_gt_u32_e32 vcc, v2, v0
	s_and_b64 exec, exec, vcc
	s_cbranch_execz .LBB4_185
; %bb.183:                              ;   in Loop: Header=BB4_6 Depth=1
	v_add_co_u32_e32 v3, vcc, v8, v5
	v_addc_co_u32_e32 v5, vcc, 0, v1, vcc
	v_add_co_u32_e32 v18, vcc, v3, v6
	v_addc_co_u32_e32 v19, vcc, 0, v5, vcc
	v_lshlrev_b64 v[18:19], 3, v[18:19]
	v_add_co_u32_e32 v3, vcc, -8, v18
	v_add_u32_e32 v18, v8, v4
	v_addc_co_u32_e32 v5, vcc, -1, v19, vcc
	v_ashrrev_i32_e32 v19, 31, v18
	v_lshlrev_b64 v[18:19], 3, v[18:19]
	s_mov_b64 s[54:55], 0
	s_mov_b64 s[56:57], s[24:25]
	v_mov_b32_e32 v10, v0
.LBB4_184:                              ;   Parent Loop BB4_6 Depth=1
                                        ; =>  This Inner Loop Header: Depth=2
	v_mov_b32_e32 v13, s57
	v_add_co_u32_e32 v20, vcc, s56, v18
	v_add_co_u32_e64 v22, s[8:9], s56, v3
	v_addc_co_u32_e32 v21, vcc, v13, v19, vcc
	v_addc_co_u32_e64 v23, s[8:9], v13, v5, s[8:9]
	global_load_dwordx2 v[24:25], v[20:21], off
	global_load_dwordx2 v[28:29], v[22:23], off
	v_add_u32_e32 v10, 0x100, v10
	s_add_u32 s56, s56, s44
	s_addc_u32 s57, s57, s45
	v_cmp_ge_u32_e32 vcc, v10, v2
	s_or_b64 s[54:55], vcc, s[54:55]
	s_waitcnt vmcnt(1)
	global_store_dwordx2 v[22:23], v[24:25], off
	s_waitcnt vmcnt(1)
	global_store_dwordx2 v[20:21], v[28:29], off
	s_andn2_b64 exec, exec, s[54:55]
	s_cbranch_execnz .LBB4_184
.LBB4_185:                              ;   in Loop: Header=BB4_6 Depth=1
	s_barrier
.LBB4_186:                              ;   in Loop: Header=BB4_6 Depth=1
	s_or_b64 exec, exec, s[12:13]
	s_xor_b64 s[10:11], s[10:11], -1
                                        ; implicit-def: $sgpr12
                                        ; implicit-def: $sgpr8_sgpr9
	s_and_saveexec_b64 s[54:55], s[10:11]
	s_xor_b64 s[10:11], exec, s[54:55]
	s_cbranch_execz .LBB4_194
; %bb.187:                              ;   in Loop: Header=BB4_6 Depth=1
	v_cmp_gt_i32_e32 vcc, s67, v6
	s_and_saveexec_b64 s[12:13], vcc
	s_cbranch_execz .LBB4_191
; %bb.188:                              ;   in Loop: Header=BB4_6 Depth=1
	v_add_u32_e32 v5, v6, v32
	v_cmp_gt_i32_e32 vcc, s22, v5
	s_and_b64 exec, exec, vcc
	s_cbranch_execz .LBB4_191
; %bb.189:                              ;   in Loop: Header=BB4_6 Depth=1
	v_add_u32_e32 v2, v12, v43
	v_ashrrev_i32_e32 v3, 31, v2
	v_lshlrev_b64 v[2:3], 3, v[2:3]
	v_mov_b32_e32 v10, s25
	v_add_co_u32_e32 v2, vcc, s24, v2
	v_addc_co_u32_e32 v3, vcc, v10, v3, vcc
	v_mul_lo_u32 v10, v43, s22
	v_add_u32_e32 v18, v10, v43
	v_ashrrev_i32_e32 v19, 31, v18
	v_lshlrev_b64 v[18:19], 3, v[18:19]
	v_mov_b32_e32 v13, s25
	v_add_co_u32_e32 v18, vcc, s24, v18
	v_addc_co_u32_e32 v19, vcc, v13, v19, vcc
	global_load_dwordx2 v[22:23], v[18:19], off
	global_load_dwordx2 v[26:27], v[2:3], off
	;; [unrolled: 1-line block ×3, first 2 shown]
	v_add3_u32 v18, v32, v12, v6
	v_mul_lo_u32 v3, s66, v6
	v_ashrrev_i32_e32 v19, 31, v18
	v_add_u32_e32 v20, v32, v3
	v_lshlrev_b64 v[18:19], 3, v[18:19]
	v_mov_b32_e32 v60, s72
	v_ashrrev_i32_e32 v21, 31, v20
	v_add_co_u32_e32 v18, vcc, s71, v18
	v_lshlrev_b64 v[20:21], 3, v[20:21]
	v_addc_co_u32_e32 v19, vcc, v60, v19, vcc
	v_mov_b32_e32 v13, s74
	v_add_co_u32_e32 v20, vcc, s73, v20
	v_addc_co_u32_e32 v21, vcc, v13, v21, vcc
	v_add_u32_e32 v28, v5, v10
	v_ashrrev_i32_e32 v29, 31, v28
	v_lshlrev_b64 v[28:29], 3, v[28:29]
	v_add_u32_e32 v2, v42, v3
	s_mov_b64 s[54:55], 0
	s_waitcnt vmcnt(1)
	v_div_scale_f64 v[44:45], s[8:9], v[26:27], v[26:27], v[22:23]
	s_waitcnt vmcnt(0)
	v_div_scale_f64 v[48:49], s[8:9], v[26:27], v[26:27], v[24:25]
	v_rcp_f64_e32 v[50:51], v[44:45]
	v_rcp_f64_e32 v[52:53], v[48:49]
	v_div_scale_f64 v[46:47], vcc, v[22:23], v[26:27], v[22:23]
	v_fma_f64 v[56:57], -v[44:45], v[50:51], 1.0
	v_fma_f64 v[58:59], -v[48:49], v[52:53], 1.0
	v_fmac_f64_e32 v[50:51], v[50:51], v[56:57]
	v_fmac_f64_e32 v[52:53], v[52:53], v[58:59]
	v_fma_f64 v[56:57], -v[44:45], v[50:51], 1.0
	v_fma_f64 v[58:59], -v[48:49], v[52:53], 1.0
	v_fmac_f64_e32 v[50:51], v[50:51], v[56:57]
	v_div_scale_f64 v[54:55], s[8:9], v[24:25], v[26:27], v[24:25]
	v_fmac_f64_e32 v[52:53], v[52:53], v[58:59]
	v_mul_f64 v[56:57], v[46:47], v[50:51]
	v_mul_f64 v[58:59], v[54:55], v[52:53]
	v_fma_f64 v[44:45], -v[44:45], v[56:57], v[46:47]
	v_fma_f64 v[46:47], -v[48:49], v[58:59], v[54:55]
	v_div_fmas_f64 v[44:45], v[44:45], v[50:51], v[56:57]
	s_mov_b64 vcc, s[8:9]
	v_div_fixup_f64 v[22:23], v[44:45], v[26:27], v[22:23]
	v_div_fmas_f64 v[44:45], v[46:47], v[52:53], v[58:59]
	v_div_fixup_f64 v[24:25], v[44:45], v[26:27], v[24:25]
	v_fma_f64 v[44:45], v[22:23], v[24:25], -1.0
	v_mul_f64 v[44:45], v[26:27], v[44:45]
	v_div_scale_f64 v[46:47], s[8:9], v[44:45], v[44:45], 1.0
	v_rcp_f64_e32 v[48:49], v[46:47]
	v_add_co_u32_e32 v26, vcc, s71, v28
	v_addc_co_u32_e32 v27, vcc, v60, v29, vcc
	v_fma_f64 v[50:51], -v[46:47], v[48:49], 1.0
	v_fmac_f64_e32 v[48:49], v[48:49], v[50:51]
	v_fma_f64 v[50:51], -v[46:47], v[48:49], 1.0
	v_div_scale_f64 v[28:29], vcc, 1.0, v[44:45], 1.0
	v_fmac_f64_e32 v[48:49], v[48:49], v[50:51]
	v_mul_f64 v[50:51], v[28:29], v[48:49]
	v_fma_f64 v[28:29], -v[46:47], v[50:51], v[28:29]
	s_nop 0
	v_div_fmas_f64 v[28:29], v[28:29], v[48:49], v[50:51]
	v_div_fixup_f64 v[28:29], v[28:29], v[44:45], 1.0
.LBB4_190:                              ;   Parent Loop BB4_6 Depth=1
                                        ; =>  This Inner Loop Header: Depth=2
	global_load_dwordx2 v[44:45], v[18:19], off
	global_load_dwordx2 v[46:47], v[26:27], off
	v_add_u32_e32 v5, 0x100, v5
	v_cmp_le_i32_e32 vcc, s22, v5
	s_or_b64 s[54:55], vcc, s[54:55]
	v_ashrrev_i32_e32 v3, 31, v2
	v_lshlrev_b64 v[48:49], 3, v[2:3]
	v_mov_b32_e32 v10, s33
	v_add_co_u32_e64 v48, s[8:9], s20, v48
	v_add_u32_e32 v2, 0x100, v2
	v_addc_co_u32_e64 v49, s[8:9], v10, v49, s[8:9]
	s_waitcnt vmcnt(0)
	v_fma_f64 v[44:45], v[22:23], v[44:45], -v[46:47]
	v_mul_f64 v[44:45], v[28:29], v[44:45]
	global_store_dwordx2 v[20:21], v[44:45], off
	global_load_dwordx2 v[44:45], v[26:27], off
	s_nop 0
	global_load_dwordx2 v[46:47], v[18:19], off
	v_add_co_u32_e32 v20, vcc, s77, v20
	v_addc_co_u32_e32 v21, vcc, 0, v21, vcc
	v_add_co_u32_e32 v26, vcc, 0x800, v26
	v_addc_co_u32_e32 v27, vcc, 0, v27, vcc
	;; [unrolled: 2-line block ×3, first 2 shown]
	s_waitcnt vmcnt(0)
	v_fma_f64 v[44:45], v[24:25], v[44:45], -v[46:47]
	v_mul_f64 v[44:45], v[28:29], v[44:45]
	global_store_dwordx2 v[48:49], v[44:45], off
	s_andn2_b64 exec, exec, s[54:55]
	s_cbranch_execnz .LBB4_190
.LBB4_191:                              ;   in Loop: Header=BB4_6 Depth=1
	s_or_b64 exec, exec, s[12:13]
	s_and_saveexec_b64 s[8:9], s[0:1]
	s_cbranch_execz .LBB4_193
; %bb.192:                              ;   in Loop: Header=BB4_6 Depth=1
	global_load_dwordx2 v[2:3], v[16:17], off
	v_mul_lo_u32 v16, v6, s21
	v_mov_b32_e32 v5, s33
	v_add_co_u32_e32 v18, vcc, s20, v14
	v_ashrrev_i32_e32 v17, 31, v16
	v_add_u32_e32 v12, v12, v43
	v_addc_co_u32_e32 v19, vcc, v5, v15, vcc
	v_lshlrev_b64 v[14:15], 3, v[16:17]
	v_ashrrev_i32_e32 v13, 31, v12
	v_add_co_u32_e32 v14, vcc, v18, v14
	v_lshlrev_b64 v[12:13], 3, v[12:13]
	v_addc_co_u32_e32 v15, vcc, v19, v15, vcc
	v_mov_b32_e32 v10, s25
	v_add_co_u32_e32 v12, vcc, s24, v12
	v_addc_co_u32_e32 v13, vcc, v10, v13, vcc
	s_waitcnt vmcnt(0)
	global_store_dwordx2 v[14:15], v[2:3], off
	global_load_dwordx2 v[2:3], v[12:13], off
	v_add_u32_e32 v14, v43, v16
	v_ashrrev_i32_e32 v15, 31, v14
	v_mul_lo_u32 v12, v43, s68
	v_lshlrev_b64 v[14:15], 3, v[14:15]
	v_ashrrev_i32_e32 v13, 31, v12
	v_add_co_u32_e32 v14, vcc, s20, v14
	v_lshlrev_b64 v[12:13], 3, v[12:13]
	v_addc_co_u32_e32 v15, vcc, v5, v15, vcc
	s_waitcnt vmcnt(0)
	global_store_dwordx2 v[14:15], v[2:3], off
	v_add_co_u32_e32 v2, vcc, s24, v12
	v_addc_co_u32_e32 v3, vcc, v10, v13, vcc
	global_load_dwordx2 v[2:3], v[2:3], off
	v_mul_lo_u32 v12, v43, s66
	v_ashrrev_i32_e32 v13, 31, v12
	v_lshlrev_b64 v[12:13], 3, v[12:13]
	v_add_co_u32_e32 v12, vcc, s20, v12
	v_addc_co_u32_e32 v13, vcc, v5, v13, vcc
	s_waitcnt vmcnt(0)
	global_store_dwordx2 v[12:13], v[2:3], off
.LBB4_193:                              ;   in Loop: Header=BB4_6 Depth=1
	s_or_b64 exec, exec, s[8:9]
	s_mov_b64 s[8:9], 0
	s_mov_b32 s12, 2
	s_barrier
	s_waitcnt lgkmcnt(0)
                                        ; implicit-def: $vgpr16_vgpr17
                                        ; implicit-def: $vgpr26
                                        ; implicit-def: $vgpr12_vgpr13
.LBB4_194:                              ;   in Loop: Header=BB4_6 Depth=1
	s_or_saveexec_b64 s[10:11], s[10:11]
	v_mov_b32_e32 v5, s12
	s_xor_b64 exec, exec, s[10:11]
	s_cbranch_execz .LBB4_201
; %bb.195:                              ;   in Loop: Header=BB4_6 Depth=1
	global_load_dwordx2 v[2:3], v[16:17], off
	s_and_saveexec_b64 s[12:13], s[0:1]
	s_cbranch_execz .LBB4_197
; %bb.196:                              ;   in Loop: Header=BB4_6 Depth=1
	v_mul_lo_u32 v14, v6, s66
	v_ashrrev_i32_e32 v15, 31, v14
	v_lshlrev_b64 v[14:15], 3, v[14:15]
	v_mov_b32_e32 v5, s33
	v_add_co_u32_e32 v14, vcc, s20, v14
	v_addc_co_u32_e32 v15, vcc, v5, v15, vcc
	s_waitcnt vmcnt(0)
	global_store_dwordx2 v[14:15], v[2:3], off
.LBB4_197:                              ;   in Loop: Header=BB4_6 Depth=1
	s_or_b64 exec, exec, s[12:13]
	s_and_saveexec_b64 s[12:13], s[6:7]
	s_cbranch_execz .LBB4_200
; %bb.198:                              ;   in Loop: Header=BB4_6 Depth=1
	s_waitcnt vmcnt(0)
	v_div_scale_f64 v[14:15], s[6:7], v[2:3], v[2:3], 1.0
	v_rcp_f64_e32 v[16:17], v[14:15]
	v_div_scale_f64 v[18:19], vcc, 1.0, v[2:3], 1.0
	v_add3_u32 v5, v12, v6, 1
	v_fma_f64 v[20:21], -v[14:15], v[16:17], 1.0
	v_fmac_f64_e32 v[16:17], v[16:17], v[20:21]
	v_fma_f64 v[20:21], -v[14:15], v[16:17], 1.0
	v_fmac_f64_e32 v[16:17], v[16:17], v[20:21]
	v_mul_f64 v[20:21], v[18:19], v[16:17]
	v_fma_f64 v[14:15], -v[14:15], v[20:21], v[18:19]
	v_div_fmas_f64 v[14:15], v[14:15], v[16:17], v[20:21]
	v_div_fixup_f64 v[2:3], v[14:15], v[2:3], 1.0
	v_mad_u64_u32 v[14:15], s[6:7], s66, v6, 1
	s_mov_b64 s[6:7], 0
	v_mov_b32_e32 v10, v0
.LBB4_199:                              ;   Parent Loop BB4_6 Depth=1
                                        ; =>  This Inner Loop Header: Depth=2
	v_add_u32_e32 v12, v5, v10
	v_ashrrev_i32_e32 v13, 31, v12
	v_lshlrev_b64 v[12:13], 3, v[12:13]
	v_mov_b32_e32 v15, s25
	v_add_co_u32_e32 v12, vcc, s24, v12
	v_addc_co_u32_e32 v13, vcc, v15, v13, vcc
	global_load_dwordx2 v[12:13], v[12:13], off
	v_add_u32_e32 v16, v14, v10
	v_add_u32_e32 v10, 0x100, v10
	v_ashrrev_i32_e32 v17, 31, v16
	v_cmp_ge_i32_e32 vcc, v10, v26
	v_lshlrev_b64 v[16:17], 3, v[16:17]
	v_mov_b32_e32 v15, s33
	s_or_b64 s[6:7], vcc, s[6:7]
	v_add_co_u32_e32 v16, vcc, s20, v16
	v_addc_co_u32_e32 v17, vcc, v15, v17, vcc
	s_waitcnt vmcnt(0)
	v_mul_f64 v[12:13], v[2:3], v[12:13]
	global_store_dwordx2 v[16:17], v[12:13], off
	s_andn2_b64 exec, exec, s[6:7]
	s_cbranch_execnz .LBB4_199
.LBB4_200:                              ;   in Loop: Header=BB4_6 Depth=1
	s_or_b64 exec, exec, s[12:13]
	v_mov_b32_e32 v5, 1
	s_or_b64 s[8:9], s[8:9], exec
	s_barrier
.LBB4_201:                              ;   in Loop: Header=BB4_6 Depth=1
	s_or_b64 exec, exec, s[10:11]
	s_branch .LBB4_205
.LBB4_202:                              ;   in Loop: Header=BB4_6 Depth=1
	s_waitcnt vmcnt(0)
	ds_read_b32 v2, v11 offset:3100
	s_waitcnt lgkmcnt(0)
	v_readfirstlane_b32 s6, v2
	s_cmp_eq_u32 s6, 0
	s_cselect_b64 s[6:7], -1, 0
	s_and_b64 s[8:9], s[0:1], s[6:7]
	s_and_saveexec_b64 s[6:7], s[8:9]
	s_cbranch_execz .LBB4_204
; %bb.203:                              ;   in Loop: Header=BB4_6 Depth=1
	ds_write_b32 v11, v43 offset:3100
.LBB4_204:                              ;   in Loop: Header=BB4_6 Depth=1
	s_or_b64 exec, exec, s[6:7]
	s_mov_b64 s[8:9], -1
	v_mov_b32_e32 v5, 1
	v_mov_b32_e32 v4, v6
.LBB4_205:                              ;   in Loop: Header=BB4_6 Depth=1
	s_and_saveexec_b64 s[6:7], s[0:1]
	s_cbranch_execz .LBB4_4
; %bb.206:                              ;   in Loop: Header=BB4_6 Depth=1
	s_waitcnt vmcnt(0)
	v_lshlrev_b64 v[2:3], 2, v[6:7]
	v_mov_b32_e32 v7, s63
	v_add_co_u32_e32 v2, vcc, s62, v2
	s_xor_b64 s[8:9], s[8:9], -1
	v_addc_co_u32_e32 v3, vcc, v7, v3, vcc
	s_and_saveexec_b64 s[10:11], s[8:9]
	s_xor_b64 s[8:9], exec, s[10:11]
	s_cbranch_execz .LBB4_208
; %bb.207:                              ;   in Loop: Header=BB4_6 Depth=1
	v_not_b32_e32 v12, v4
	v_mov_b32_e32 v13, v12
	global_store_dwordx2 v[2:3], v[12:13], off
                                        ; implicit-def: $vgpr4
                                        ; implicit-def: $vgpr2_vgpr3
.LBB4_208:                              ;   in Loop: Header=BB4_6 Depth=1
	s_andn2_saveexec_b64 s[8:9], s[8:9]
	s_cbranch_execz .LBB4_4
; %bb.209:                              ;   in Loop: Header=BB4_6 Depth=1
	v_add_u32_e32 v4, 1, v4
	global_store_dword v[2:3], v4, off
	s_branch .LBB4_4
.LBB4_210:
	s_or_b64 exec, exec, s[46:47]
	s_and_saveexec_b64 s[2:3], s[0:1]
	s_cbranch_execz .LBB4_212
.LBB4_211:
	v_mov_b32_e32 v1, 0
	s_lshl_b64 s[0:1], s[34:35], 2
	s_waitcnt vmcnt(0)
	ds_read_b32 v2, v1 offset:3100
	s_add_u32 s4, s16, s0
	s_addc_u32 s5, s17, s1
	s_add_u32 s0, s14, s0
	s_addc_u32 s1, s15, s1
	global_store_dword v1, v6, s[4:5]
	s_waitcnt lgkmcnt(0)
	global_store_dword v1, v2, s[0:1]
.LBB4_212:
	s_or_b64 exec, exec, s[2:3]
	v_cmp_gt_i32_e32 vcc, s22, v6
	s_and_saveexec_b64 s[4:5], vcc
	s_cbranch_execz .LBB4_233
; %bb.213:
	v_ashrrev_i32_e32 v7, 31, v6
	s_add_u32 s2, s26, s36
	v_lshlrev_b64 v[4:5], 3, v[6:7]
	s_addc_u32 s3, s27, s37
	v_mov_b32_e32 v1, s3
	s_waitcnt vmcnt(0)
	v_add_co_u32_e32 v2, vcc, s2, v4
	s_ashr_i32 s3, s23, 31
	s_mov_b32 s2, s23
	s_lshl_b64 s[6:7], s[2:3], 3
	s_ashr_i32 s3, s22, 31
	s_mov_b32 s2, s22
	s_lshl_b64 s[8:9], s[2:3], 3
	s_add_u32 s2, s28, s30
	v_addc_co_u32_e32 v3, vcc, v1, v5, vcc
	s_addc_u32 s3, s29, s31
	v_mov_b32_e32 v1, s3
	v_add_co_u32_e32 v4, vcc, s2, v4
	v_addc_co_u32_e32 v1, vcc, v1, v5, vcc
	v_add_co_u32_e32 v4, vcc, v4, v9
	v_addc_co_u32_e32 v1, vcc, 0, v1, vcc
	s_ashr_i32 s3, s21, 31
	s_mov_b32 s2, s21
	v_mov_b32_e32 v7, s19
	v_add_co_u32_e32 v8, vcc, s18, v4
	s_lshl_b64 s[10:11], s[2:3], 3
	v_cmp_ne_u32_e64 s[0:1], 0, v6
	v_mov_b32_e32 v5, 0
	v_addc_co_u32_e32 v9, vcc, v7, v1, vcc
	s_mov_b64 s[12:13], 0
	v_mov_b32_e32 v1, s9
	v_mov_b32_e32 v7, s11
	;; [unrolled: 1-line block ×3, first 2 shown]
	s_branch .LBB4_215
.LBB4_214:                              ;   in Loop: Header=BB4_215 Depth=1
	s_or_b64 exec, exec, s[2:3]
	v_mov_b32_e32 v4, s7
	v_add_co_u32_e32 v2, vcc, s6, v2
	v_add_u32_e32 v10, s23, v10
	v_addc_co_u32_e32 v3, vcc, v3, v4, vcc
	v_cmp_le_i32_e32 vcc, s22, v10
	s_or_b64 s[12:13], vcc, s[12:13]
	v_add_co_u32_e32 v8, vcc, s6, v8
	v_addc_co_u32_e32 v9, vcc, v9, v4, vcc
	s_andn2_b64 exec, exec, s[12:13]
	s_cbranch_execz .LBB4_233
.LBB4_215:                              ; =>This Loop Header: Depth=1
                                        ;     Child Loop BB4_218 Depth 2
                                        ;       Child Loop BB4_221 Depth 3
                                        ;         Child Loop BB4_223 Depth 4
                                        ;     Child Loop BB4_229 Depth 2
                                        ;       Child Loop BB4_231 Depth 3
	v_sub_u32_e32 v11, s22, v10
	v_min_i32_e32 v13, s23, v11
	v_add_u32_e32 v12, v13, v10
	v_cmp_lt_i32_e32 vcc, 0, v13
	s_and_saveexec_b64 s[14:15], vcc
	s_cbranch_execz .LBB4_225
; %bb.216:                              ;   in Loop: Header=BB4_215 Depth=1
	s_mov_b64 s[16:17], 0
	v_pk_mov_b32 v[14:15], v[8:9], v[8:9] op_sel:[0,1]
	v_pk_mov_b32 v[16:17], v[2:3], v[2:3] op_sel:[0,1]
	v_mov_b32_e32 v18, v10
	s_branch .LBB4_218
.LBB4_217:                              ;   in Loop: Header=BB4_218 Depth=2
	s_or_b64 exec, exec, s[18:19]
	v_add_co_u32_e32 v16, vcc, 8, v16
	v_add_u32_e32 v18, 1, v18
	v_addc_co_u32_e32 v17, vcc, 0, v17, vcc
	v_cmp_ge_i32_e32 vcc, v18, v12
	s_or_b64 s[16:17], vcc, s[16:17]
	v_add_co_u32_e32 v14, vcc, 8, v14
	v_addc_co_u32_e32 v15, vcc, 0, v15, vcc
	s_andn2_b64 exec, exec, s[16:17]
	s_cbranch_execz .LBB4_225
.LBB4_218:                              ;   Parent Loop BB4_215 Depth=1
                                        ; =>  This Loop Header: Depth=2
                                        ;       Child Loop BB4_221 Depth 3
                                        ;         Child Loop BB4_223 Depth 4
	v_sub_u32_e32 v28, v12, v18
	v_cmp_gt_i32_e32 vcc, v28, v0
	s_and_saveexec_b64 s[18:19], vcc
	s_cbranch_execz .LBB4_217
; %bb.219:                              ;   in Loop: Header=BB4_218 Depth=2
	v_ashrrev_i32_e32 v19, 31, v18
	v_lshlrev_b64 v[20:21], 3, v[18:19]
	v_mov_b32_e32 v4, s33
	v_add_co_u32_e32 v19, vcc, s20, v20
	v_mul_lo_u32 v20, v18, s21
	v_addc_co_u32_e32 v4, vcc, v4, v21, vcc
	v_ashrrev_i32_e32 v21, 31, v20
	v_lshlrev_b64 v[20:21], 3, v[20:21]
	v_add_co_u32_e32 v19, vcc, v19, v20
	v_addc_co_u32_e32 v29, vcc, v4, v21, vcc
	s_mov_b64 s[26:27], 0
	v_pk_mov_b32 v[20:21], v[14:15], v[14:15] op_sel:[0,1]
	v_mov_b32_e32 v4, v0
	s_branch .LBB4_221
.LBB4_220:                              ;   in Loop: Header=BB4_221 Depth=3
	s_or_b64 exec, exec, s[2:3]
	v_lshlrev_b64 v[24:25], 3, v[4:5]
	v_add_co_u32_e32 v24, vcc, v19, v24
	v_addc_co_u32_e32 v25, vcc, v29, v25, vcc
	global_load_dwordx2 v[26:27], v[24:25], off
	v_add_u32_e32 v4, 0x100, v4
	v_add_co_u32_e32 v20, vcc, 0x800, v20
	v_cmp_ge_i32_e64 s[2:3], v4, v28
	s_or_b64 s[26:27], s[2:3], s[26:27]
	v_addc_co_u32_e32 v21, vcc, 0, v21, vcc
	s_waitcnt vmcnt(0)
	v_add_f64 v[22:23], v[26:27], -v[22:23]
	global_store_dwordx2 v[24:25], v[22:23], off
	s_andn2_b64 exec, exec, s[26:27]
	s_cbranch_execz .LBB4_217
.LBB4_221:                              ;   Parent Loop BB4_215 Depth=1
                                        ;     Parent Loop BB4_218 Depth=2
                                        ; =>    This Loop Header: Depth=3
                                        ;         Child Loop BB4_223 Depth 4
	v_pk_mov_b32 v[22:23], 0, 0
	s_and_saveexec_b64 s[2:3], s[0:1]
	s_cbranch_execz .LBB4_220
; %bb.222:                              ;   in Loop: Header=BB4_221 Depth=3
	s_mov_b64 s[28:29], 0
	v_pk_mov_b32 v[22:23], 0, 0
	v_pk_mov_b32 v[24:25], v[20:21], v[20:21] op_sel:[0,1]
	v_pk_mov_b32 v[26:27], v[16:17], v[16:17] op_sel:[0,1]
	v_mov_b32_e32 v31, v6
.LBB4_223:                              ;   Parent Loop BB4_215 Depth=1
                                        ;     Parent Loop BB4_218 Depth=2
                                        ;       Parent Loop BB4_221 Depth=3
                                        ; =>      This Inner Loop Header: Depth=4
	global_load_dwordx2 v[32:33], v[24:25], off
	global_load_dwordx2 v[34:35], v[26:27], off
	v_add_co_u32_e32 v26, vcc, s8, v26
	v_addc_co_u32_e32 v27, vcc, v27, v1, vcc
	v_add_co_u32_e32 v24, vcc, s10, v24
	v_add_u32_e32 v31, -1, v31
	v_addc_co_u32_e32 v25, vcc, v25, v7, vcc
	v_cmp_eq_u32_e32 vcc, 0, v31
	s_or_b64 s[28:29], vcc, s[28:29]
	s_waitcnt vmcnt(0)
	v_fmac_f64_e32 v[22:23], v[32:33], v[34:35]
	s_andn2_b64 exec, exec, s[28:29]
	s_cbranch_execnz .LBB4_223
; %bb.224:                              ;   in Loop: Header=BB4_221 Depth=3
	s_or_b64 exec, exec, s[28:29]
	s_branch .LBB4_220
.LBB4_225:                              ;   in Loop: Header=BB4_215 Depth=1
	s_or_b64 exec, exec, s[14:15]
	v_cmp_gt_i32_e32 vcc, s22, v12
	s_and_saveexec_b64 s[2:3], vcc
	s_cbranch_execz .LBB4_214
; %bb.226:                              ;   in Loop: Header=BB4_215 Depth=1
	v_sub_u32_e32 v15, v11, v13
	v_mul_lo_u32 v20, v15, v13
	v_cmp_gt_i32_e32 vcc, v20, v0
	s_and_b64 exec, exec, vcc
	s_cbranch_execz .LBB4_214
; %bb.227:                              ;   in Loop: Header=BB4_215 Depth=1
	v_ashrrev_i32_e32 v13, 31, v12
	v_lshlrev_b64 v[12:13], 3, v[12:13]
	v_mov_b32_e32 v4, s33
	v_add_co_u32_e32 v21, vcc, s20, v12
	v_ashrrev_i32_e32 v11, 31, v10
	v_addc_co_u32_e32 v22, vcc, v4, v13, vcc
	v_lshlrev_b64 v[12:13], 3, v[10:11]
	v_sub_u32_e32 v11, 0, v15
	v_max_i32_e32 v11, v15, v11
	v_cvt_f32_u32_e32 v14, v11
	v_mov_b32_e32 v4, s25
	v_add_co_u32_e32 v23, vcc, s24, v12
	v_addc_co_u32_e32 v24, vcc, v4, v13, vcc
	v_rcp_iflag_f32_e32 v4, v14
	v_mul_lo_u32 v12, v10, s21
	v_ashrrev_i32_e32 v13, 31, v12
	v_lshlrev_b64 v[12:13], 3, v[12:13]
	v_mul_f32_e32 v4, 0x4f7ffffe, v4
	v_cvt_u32_f32_e32 v4, v4
	v_add_co_u32_e32 v25, vcc, v21, v12
	v_sub_u32_e32 v12, 0, v11
	v_mul_lo_u32 v12, v12, v4
	v_mul_hi_u32 v12, v4, v12
	v_addc_co_u32_e32 v26, vcc, v22, v13, vcc
	v_ashrrev_i32_e32 v27, 31, v15
	v_add_u32_e32 v4, v4, v12
	s_mov_b64 s[14:15], 0
	v_mov_b32_e32 v28, v0
	s_branch .LBB4_229
.LBB4_228:                              ;   in Loop: Header=BB4_229 Depth=2
	s_or_b64 exec, exec, s[16:17]
	v_mad_u64_u32 v[16:17], s[16:17], v29, s21, v[14:15]
	v_ashrrev_i32_e32 v17, 31, v16
	v_lshlrev_b64 v[16:17], 3, v[16:17]
	v_add_co_u32_e32 v16, vcc, v25, v16
	v_addc_co_u32_e32 v17, vcc, v26, v17, vcc
	global_load_dwordx2 v[18:19], v[16:17], off
	v_add_u32_e32 v28, 0x100, v28
	v_cmp_ge_i32_e32 vcc, v28, v20
	s_or_b64 s[14:15], vcc, s[14:15]
	s_waitcnt vmcnt(0)
	v_add_f64 v[12:13], v[18:19], -v[12:13]
	global_store_dwordx2 v[16:17], v[12:13], off
	s_andn2_b64 exec, exec, s[14:15]
	s_cbranch_execz .LBB4_214
.LBB4_229:                              ;   Parent Loop BB4_215 Depth=1
                                        ; =>  This Loop Header: Depth=2
                                        ;       Child Loop BB4_231 Depth 3
	v_mul_hi_u32 v12, v28, v4
	v_mul_lo_u32 v13, v12, v11
	v_sub_u32_e32 v13, v28, v13
	v_add_u32_e32 v14, 1, v12
	v_cmp_ge_u32_e32 vcc, v13, v11
	v_cndmask_b32_e32 v12, v12, v14, vcc
	v_sub_u32_e32 v14, v13, v11
	v_cndmask_b32_e32 v13, v13, v14, vcc
	v_add_u32_e32 v14, 1, v12
	v_cmp_ge_u32_e32 vcc, v13, v11
	v_cndmask_b32_e32 v12, v12, v14, vcc
	v_xor_b32_e32 v12, v12, v27
	v_sub_u32_e32 v29, v12, v27
	v_mul_lo_u32 v12, v29, v15
	v_sub_u32_e32 v14, v28, v12
	v_pk_mov_b32 v[12:13], 0, 0
	s_and_saveexec_b64 s[16:17], s[0:1]
	s_cbranch_execz .LBB4_228
; %bb.230:                              ;   in Loop: Header=BB4_229 Depth=2
	s_mov_b64 s[18:19], 0
	v_pk_mov_b32 v[12:13], 0, 0
	v_mov_b32_e32 v16, v14
	v_mov_b32_e32 v18, v29
	v_mov_b32_e32 v31, v6
.LBB4_231:                              ;   Parent Loop BB4_215 Depth=1
                                        ;     Parent Loop BB4_229 Depth=2
                                        ; =>    This Inner Loop Header: Depth=3
	v_ashrrev_i32_e32 v17, 31, v16
	v_lshlrev_b64 v[32:33], 3, v[16:17]
	v_add_co_u32_e32 v32, vcc, v21, v32
	v_ashrrev_i32_e32 v19, 31, v18
	v_addc_co_u32_e32 v33, vcc, v22, v33, vcc
	v_lshlrev_b64 v[34:35], 3, v[18:19]
	v_add_co_u32_e32 v34, vcc, v23, v34
	v_addc_co_u32_e32 v35, vcc, v24, v35, vcc
	global_load_dwordx2 v[32:33], v[32:33], off
	v_add_u32_e32 v31, -1, v31
	global_load_dwordx2 v[34:35], v[34:35], off
	v_cmp_eq_u32_e32 vcc, 0, v31
	v_add_u32_e32 v18, s22, v18
	s_or_b64 s[18:19], vcc, s[18:19]
	v_add_u32_e32 v16, s21, v16
	s_waitcnt vmcnt(0)
	v_fmac_f64_e32 v[12:13], v[32:33], v[34:35]
	s_andn2_b64 exec, exec, s[18:19]
	s_cbranch_execnz .LBB4_231
; %bb.232:                              ;   in Loop: Header=BB4_229 Depth=2
	s_or_b64 exec, exec, s[18:19]
	s_branch .LBB4_228
.LBB4_233:
	s_or_b64 exec, exec, s[4:5]
	v_cmp_lt_i32_e32 vcc, 1, v6
	s_waitcnt lgkmcnt(0)
	s_barrier
	s_and_saveexec_b64 s[0:1], vcc
	s_cbranch_execz .LBB4_241
; %bb.234:
	s_add_u32 s6, s20, -8
	s_addc_u32 s7, s33, -1
	s_lshl_b32 s8, s21, 8
	s_mov_b64 s[2:3], 0
	s_waitcnt vmcnt(0)
	v_mov_b32_e32 v3, 0
	v_mov_b32_e32 v4, s63
	s_branch .LBB4_237
.LBB4_235:                              ;   in Loop: Header=BB4_237 Depth=1
	s_barrier
.LBB4_236:                              ;   in Loop: Header=BB4_237 Depth=1
	s_or_b64 exec, exec, s[0:1]
	v_cmp_gt_i32_e32 vcc, 2, v5
	s_or_b64 s[2:3], vcc, s[2:3]
	v_mov_b32_e32 v6, v5
	s_andn2_b64 exec, exec, s[2:3]
	s_cbranch_execz .LBB4_241
.LBB4_237:                              ; =>This Loop Header: Depth=1
                                        ;     Child Loop BB4_240 Depth 2
	v_add_u32_e32 v2, -1, v6
	v_lshlrev_b64 v[8:9], 2, v[2:3]
	v_add_co_u32_e32 v8, vcc, s62, v8
	v_addc_co_u32_e32 v9, vcc, v4, v9, vcc
	global_load_dword v1, v[8:9], off
	v_add_u32_e32 v5, -2, v6
	s_waitcnt vmcnt(0)
	v_not_b32_e32 v7, v1
	v_add_u32_e32 v8, -1, v1
	v_cmp_gt_i32_e32 vcc, 0, v1
	v_cndmask_b32_e32 v7, v8, v7, vcc
	v_cndmask_b32_e32 v5, v2, v5, vcc
	v_cmp_ne_u32_e32 vcc, v7, v2
	v_cmp_ne_u32_e64 s[0:1], 0, v5
	s_and_b64 s[4:5], vcc, s[0:1]
	s_and_saveexec_b64 s[0:1], s[4:5]
	s_cbranch_execz .LBB4_236
; %bb.238:                              ;   in Loop: Header=BB4_237 Depth=1
	v_cmp_gt_i32_e32 vcc, v5, v0
	s_and_b64 exec, exec, vcc
	s_cbranch_execz .LBB4_235
; %bb.239:                              ;   in Loop: Header=BB4_237 Depth=1
	v_ashrrev_i32_e32 v1, 31, v6
	s_mov_b64 s[4:5], 0
	v_mov_b32_e32 v2, v30
	v_mov_b32_e32 v8, v0
.LBB4_240:                              ;   Parent Loop BB4_237 Depth=1
                                        ; =>  This Inner Loop Header: Depth=2
	v_add_u32_e32 v10, v7, v2
	v_ashrrev_i32_e32 v13, 31, v2
	v_add_co_u32_e32 v12, vcc, v2, v6
	v_ashrrev_i32_e32 v11, 31, v10
	v_addc_co_u32_e32 v13, vcc, v13, v1, vcc
	v_lshlrev_b64 v[10:11], 3, v[10:11]
	v_mov_b32_e32 v9, s33
	v_add_co_u32_e32 v10, vcc, s20, v10
	v_lshlrev_b64 v[12:13], 3, v[12:13]
	v_addc_co_u32_e32 v11, vcc, v9, v11, vcc
	v_mov_b32_e32 v14, s7
	v_add_co_u32_e32 v12, vcc, s6, v12
	v_addc_co_u32_e32 v13, vcc, v14, v13, vcc
	global_load_dwordx2 v[14:15], v[12:13], off
	global_load_dwordx2 v[16:17], v[10:11], off
	v_add_u32_e32 v8, 0x100, v8
	v_cmp_ge_i32_e32 vcc, v8, v5
	v_add_u32_e32 v2, s8, v2
	s_or_b64 s[4:5], vcc, s[4:5]
	s_waitcnt vmcnt(1)
	global_store_dwordx2 v[10:11], v[14:15], off
	s_waitcnt vmcnt(1)
	global_store_dwordx2 v[12:13], v[16:17], off
	s_andn2_b64 exec, exec, s[4:5]
	s_cbranch_execnz .LBB4_240
	s_branch .LBB4_235
.LBB4_241:
	s_endpgm
.LBB4_242:
	v_mov_b32_e32 v6, 0
	s_and_saveexec_b64 s[2:3], s[0:1]
	s_cbranch_execnz .LBB4_211
	s_branch .LBB4_212
	.section	.rodata,"a",@progbits
	.p2align	6, 0x0
	.amdhsa_kernel _ZN9rocsolver6v33100L18lasyf_kernel_lowerIdPdEEviiPiT0_iilS3_lS3_PT_
		.amdhsa_group_segment_fixed_size 3104
		.amdhsa_private_segment_fixed_size 0
		.amdhsa_kernarg_size 72
		.amdhsa_user_sgpr_count 6
		.amdhsa_user_sgpr_private_segment_buffer 1
		.amdhsa_user_sgpr_dispatch_ptr 0
		.amdhsa_user_sgpr_queue_ptr 0
		.amdhsa_user_sgpr_kernarg_segment_ptr 1
		.amdhsa_user_sgpr_dispatch_id 0
		.amdhsa_user_sgpr_flat_scratch_init 0
		.amdhsa_user_sgpr_kernarg_preload_length 0
		.amdhsa_user_sgpr_kernarg_preload_offset 0
		.amdhsa_user_sgpr_private_segment_size 0
		.amdhsa_uses_dynamic_stack 0
		.amdhsa_system_sgpr_private_segment_wavefront_offset 0
		.amdhsa_system_sgpr_workgroup_id_x 1
		.amdhsa_system_sgpr_workgroup_id_y 1
		.amdhsa_system_sgpr_workgroup_id_z 0
		.amdhsa_system_sgpr_workgroup_info 0
		.amdhsa_system_vgpr_workitem_id 0
		.amdhsa_next_free_vgpr 61
		.amdhsa_next_free_sgpr 78
		.amdhsa_accum_offset 64
		.amdhsa_reserve_vcc 1
		.amdhsa_reserve_flat_scratch 0
		.amdhsa_float_round_mode_32 0
		.amdhsa_float_round_mode_16_64 0
		.amdhsa_float_denorm_mode_32 3
		.amdhsa_float_denorm_mode_16_64 3
		.amdhsa_dx10_clamp 1
		.amdhsa_ieee_mode 1
		.amdhsa_fp16_overflow 0
		.amdhsa_tg_split 0
		.amdhsa_exception_fp_ieee_invalid_op 0
		.amdhsa_exception_fp_denorm_src 0
		.amdhsa_exception_fp_ieee_div_zero 0
		.amdhsa_exception_fp_ieee_overflow 0
		.amdhsa_exception_fp_ieee_underflow 0
		.amdhsa_exception_fp_ieee_inexact 0
		.amdhsa_exception_int_div_zero 0
	.end_amdhsa_kernel
	.section	.text._ZN9rocsolver6v33100L18lasyf_kernel_lowerIdPdEEviiPiT0_iilS3_lS3_PT_,"axG",@progbits,_ZN9rocsolver6v33100L18lasyf_kernel_lowerIdPdEEviiPiT0_iilS3_lS3_PT_,comdat
.Lfunc_end4:
	.size	_ZN9rocsolver6v33100L18lasyf_kernel_lowerIdPdEEviiPiT0_iilS3_lS3_PT_, .Lfunc_end4-_ZN9rocsolver6v33100L18lasyf_kernel_lowerIdPdEEviiPiT0_iilS3_lS3_PT_
                                        ; -- End function
	.section	.AMDGPU.csdata,"",@progbits
; Kernel info:
; codeLenInByte = 9604
; NumSgprs: 82
; NumVgprs: 61
; NumAgprs: 0
; TotalNumVgprs: 61
; ScratchSize: 0
; MemoryBound: 0
; FloatMode: 240
; IeeeMode: 1
; LDSByteSize: 3104 bytes/workgroup (compile time only)
; SGPRBlocks: 10
; VGPRBlocks: 7
; NumSGPRsForWavesPerEU: 82
; NumVGPRsForWavesPerEU: 61
; AccumOffset: 64
; Occupancy: 8
; WaveLimiterHint : 1
; COMPUTE_PGM_RSRC2:SCRATCH_EN: 0
; COMPUTE_PGM_RSRC2:USER_SGPR: 6
; COMPUTE_PGM_RSRC2:TRAP_HANDLER: 0
; COMPUTE_PGM_RSRC2:TGID_X_EN: 1
; COMPUTE_PGM_RSRC2:TGID_Y_EN: 1
; COMPUTE_PGM_RSRC2:TGID_Z_EN: 0
; COMPUTE_PGM_RSRC2:TIDIG_COMP_CNT: 0
; COMPUTE_PGM_RSRC3_GFX90A:ACCUM_OFFSET: 15
; COMPUTE_PGM_RSRC3_GFX90A:TG_SPLIT: 0
	.section	.text._ZN9rocsolver6v33100L18lasyf_kernel_upperI19rocblas_complex_numIfEPS3_EEviiPiT0_iilS5_lS5_PT_,"axG",@progbits,_ZN9rocsolver6v33100L18lasyf_kernel_upperI19rocblas_complex_numIfEPS3_EEviiPiT0_iilS5_lS5_PT_,comdat
	.globl	_ZN9rocsolver6v33100L18lasyf_kernel_upperI19rocblas_complex_numIfEPS3_EEviiPiT0_iilS5_lS5_PT_ ; -- Begin function _ZN9rocsolver6v33100L18lasyf_kernel_upperI19rocblas_complex_numIfEPS3_EEviiPiT0_iilS5_lS5_PT_
	.p2align	8
	.type	_ZN9rocsolver6v33100L18lasyf_kernel_upperI19rocblas_complex_numIfEPS3_EEviiPiT0_iilS5_lS5_PT_,@function
_ZN9rocsolver6v33100L18lasyf_kernel_upperI19rocblas_complex_numIfEPS3_EEviiPiT0_iilS5_lS5_PT_: ; @_ZN9rocsolver6v33100L18lasyf_kernel_upperI19rocblas_complex_numIfEPS3_EEviiPiT0_iilS5_lS5_PT_
; %bb.0:
	s_mov_b32 s34, s7
	v_cmp_eq_u32_e64 s[0:1], 0, v0
	s_and_saveexec_b64 s[2:3], s[0:1]
	s_cbranch_execz .LBB5_2
; %bb.1:
	v_mov_b32_e32 v1, 0
	ds_write_b32 v1, v1 offset:2052
.LBB5_2:
	s_or_b64 exec, exec, s[2:3]
	s_load_dwordx2 s[20:21], s[4:5], 0x18
	s_load_dwordx2 s[22:23], s[4:5], 0x0
	s_load_dwordx4 s[16:19], s[4:5], 0x8
	s_load_dwordx8 s[8:15], s[4:5], 0x20
	s_load_dwordx2 s[24:25], s[4:5], 0x40
	s_ashr_i32 s35, s34, 31
	s_waitcnt lgkmcnt(0)
	s_ashr_i32 s3, s20, 31
	s_mov_b32 s2, s20
	s_mul_i32 s4, s34, s9
	s_mul_hi_u32 s5, s34, s8
	s_add_i32 s4, s5, s4
	s_mul_i32 s5, s35, s8
	s_add_i32 s5, s4, s5
	s_mul_i32 s4, s34, s8
	s_lshl_b64 s[26:27], s[4:5], 3
	s_add_u32 s4, s18, s26
	s_addc_u32 s5, s19, s27
	s_lshl_b64 s[28:29], s[2:3], 3
	s_mul_i32 s2, s34, s22
	s_add_u32 s33, s4, s28
	s_mul_i32 s2, s2, s23
	s_addc_u32 s42, s5, s29
	s_ashr_i32 s3, s2, 31
	s_lshl_b64 s[30:31], s[2:3], 3
	s_add_u32 s59, s24, s30
	s_mul_i32 s2, s34, s13
	s_mul_hi_u32 s3, s34, s12
	s_addc_u32 s60, s25, s31
	s_add_i32 s2, s3, s2
	s_mul_i32 s3, s35, s12
	s_add_i32 s3, s2, s3
	s_mul_i32 s2, s34, s12
	s_lshl_b64 s[2:3], s[2:3], 2
	s_add_u32 s56, s10, s2
	s_addc_u32 s57, s11, s3
	s_add_i32 s58, s22, -1
	s_cmp_lt_i32 s58, 0
	v_lshlrev_b32_e32 v18, 3, v0
	v_add_u32_e32 v1, 1, v0
	s_mov_b32 s6, s23
	s_mov_b32 s36, s58
	s_cbranch_scc1 .LBB5_229
; %bb.3:
	s_sub_i32 s61, s23, s22
	s_add_i32 s85, s23, -1
	s_sub_i32 s62, s22, s23
	s_cmp_eq_u32 s23, s22
	s_cselect_b64 s[6:7], -1, 0
	s_add_i32 s63, s21, 1
	s_lshl_b32 s64, s22, 1
	s_add_u32 s65, s33, 8
	s_addc_u32 s66, s42, 0
	s_add_u32 s67, s59, 8
	s_addc_u32 s68, s60, 0
	s_add_u32 s69, s59, -8
	s_addc_u32 s70, s60, -1
	s_add_u32 s71, s33, -8
	s_addc_u32 s72, s42, -1
	s_add_u32 s73, s24, s30
	s_addc_u32 s74, s25, s31
	s_add_u32 s8, s26, s28
	s_addc_u32 s9, s27, s29
	;; [unrolled: 2-line block ×3, first 2 shown]
	s_add_u32 s77, s73, 4
	v_mov_b32_e32 v21, s76
	v_add_co_u32_e32 v22, vcc, s75, v18
	s_addc_u32 s78, s74, 0
	s_ashr_i32 s9, s22, 31
	s_mov_b32 s8, s22
	v_addc_co_u32_e32 v23, vcc, 0, v21, vcc
	s_lshl_b64 s[38:39], s[8:9], 3
	s_ashr_i32 s9, s21, 31
	s_mov_b32 s8, s21
	v_mov_b32_e32 v24, s74
	v_add_co_u32_e32 v25, vcc, s73, v18
	s_lshl_b64 s[40:41], s[8:9], 3
	v_addc_co_u32_e32 v26, vcc, 0, v24, vcc
	s_lshl_b32 s79, s21, 8
	v_add_u32_e32 v2, s23, v0
	s_lshl_b32 s80, s22, 8
	v_lshlrev_b32_e32 v19, 2, v0
	s_movk_i32 s2, 0x80
	v_add_co_u32_e32 v27, vcc, 8, v25
	v_subrev_u32_e32 v2, s22, v2
	s_add_u32 s81, s75, 4
	v_or_b32_e32 v20, 0x400, v19
	v_cmp_gt_u32_e64 s[2:3], s2, v0
	v_cmp_gt_u32_e64 s[4:5], 64, v0
	v_mov_b32_e32 v3, 0
	v_addc_co_u32_e32 v28, vcc, 0, v26, vcc
	v_add_u32_e32 v29, 1, v2
	s_addc_u32 s82, s76, 0
	s_mov_b32 s20, 0
	v_mov_b32_e32 v30, s41
	s_brev_b32 s83, -2
	s_mov_b32 s43, 1.0
	v_mov_b32_e32 v4, -1.0
	s_mov_b32 s44, -1.0
	s_xor_b64 s[46:47], s[6:7], -1
	s_movk_i32 s84, 0x800
	s_mov_b32 s36, s58
	s_branch .LBB5_5
.LBB5_4:                                ;   in Loop: Header=BB5_5 Depth=1
	s_or_b64 exec, exec, s[6:7]
	s_add_i32 s36, s12, s36
	s_add_i32 s85, s36, s61
	s_cmp_lt_i32 s36, 0
	s_cselect_b64 s[6:7], -1, 0
	s_and_b64 vcc, exec, s[6:7]
	s_cbranch_vccnz .LBB5_228
.LBB5_5:                                ; =>This Loop Header: Depth=1
                                        ;     Child Loop BB5_8 Depth 2
                                        ;     Child Loop BB5_15 Depth 2
                                        ;       Child Loop BB5_17 Depth 3
                                        ;     Child Loop BB5_22 Depth 2
                                        ;     Child Loop BB5_65 Depth 2
	;; [unrolled: 1-line block ×4, first 2 shown]
                                        ;       Child Loop BB5_77 Depth 3
                                        ;     Child Loop BB5_82 Depth 2
                                        ;     Child Loop BB5_124 Depth 2
	;; [unrolled: 1-line block ×9, first 2 shown]
	s_cmp_le_i32 s36, s62
	s_cselect_b64 s[6:7], -1, 0
	s_and_b64 s[6:7], s[46:47], s[6:7]
	s_and_b64 vcc, exec, s[6:7]
	s_cbranch_vccnz .LBB5_18
; %bb.6:                                ;   in Loop: Header=BB5_5 Depth=1
	v_cmp_ge_i32_e64 s[8:9], s36, v0
	s_and_saveexec_b64 s[6:7], s[8:9]
	s_cbranch_execz .LBB5_9
; %bb.7:                                ;   in Loop: Header=BB5_5 Depth=1
	s_mul_i32 s11, s85, s22
	v_add_u32_e32 v6, s11, v0
	s_mul_i32 s10, s36, s21
	v_ashrrev_i32_e32 v7, 31, v6
	v_lshlrev_b64 v[6:7], 3, v[6:7]
	v_add_u32_e32 v8, s10, v0
	v_add_co_u32_e32 v6, vcc, s73, v6
	v_ashrrev_i32_e32 v9, 31, v8
	v_addc_co_u32_e32 v7, vcc, v24, v7, vcc
	v_lshlrev_b64 v[8:9], 3, v[8:9]
	v_add_co_u32_e32 v8, vcc, s75, v8
	v_addc_co_u32_e32 v9, vcc, v21, v9, vcc
	s_mov_b64 s[10:11], 0
	v_mov_b32_e32 v2, v0
.LBB5_8:                                ;   Parent Loop BB5_5 Depth=1
                                        ; =>  This Inner Loop Header: Depth=2
	global_load_dwordx2 v[10:11], v[8:9], off
	v_add_u32_e32 v2, 0x100, v2
	v_cmp_lt_i32_e32 vcc, s36, v2
	s_or_b64 s[10:11], vcc, s[10:11]
	s_waitcnt vmcnt(0)
	global_store_dwordx2 v[6:7], v[10:11], off
	v_add_co_u32_e32 v6, vcc, 0x800, v6
	v_addc_co_u32_e32 v7, vcc, 0, v7, vcc
	v_add_co_u32_e32 v8, vcc, 0x800, v8
	v_addc_co_u32_e32 v9, vcc, 0, v9, vcc
	s_andn2_b64 exec, exec, s[10:11]
	s_cbranch_execnz .LBB5_8
.LBB5_9:                                ;   in Loop: Header=BB5_5 Depth=1
	s_or_b64 exec, exec, s[6:7]
	s_cmp_ge_i32 s36, s58
	s_cselect_b64 s[50:51], -1, 0
	s_cmp_lt_i32 s36, s58
	s_mov_b64 s[6:7], -1
	s_barrier
	s_waitcnt lgkmcnt(0)
                                        ; implicit-def: $sgpr48
	s_cbranch_scc1 .LBB5_11
; %bb.10:                               ;   in Loop: Header=BB5_5 Depth=1
	s_mul_i32 s48, s85, s22
	s_ashr_i32 s49, s48, 31
	s_mov_b64 s[6:7], 0
.LBB5_11:                               ;   in Loop: Header=BB5_5 Depth=1
	s_andn2_b64 vcc, exec, s[6:7]
	s_cbranch_vccnz .LBB5_20
; %bb.12:                               ;   in Loop: Header=BB5_5 Depth=1
	s_mul_i32 s48, s85, s22
	s_ashr_i32 s49, s48, 31
	s_and_saveexec_b64 s[10:11], s[8:9]
	s_cbranch_execz .LBB5_19
; %bb.13:                               ;   in Loop: Header=BB5_5 Depth=1
	s_add_i32 s6, s36, 1
	s_add_i32 s12, s85, 1
	s_not_b32 s45, s36
	s_mul_i32 s6, s6, s21
	s_mul_i32 s52, s12, s22
	s_add_i32 s45, s45, s22
	s_ashr_i32 s7, s6, 31
	s_ashr_i32 s53, s52, 31
	s_lshl_b64 s[12:13], s[48:49], 3
	s_add_u32 s86, s59, s12
	s_addc_u32 s87, s60, s13
	s_mov_b32 s37, s20
	s_cmp_gt_i32 s45, 0
	s_cselect_b64 s[12:13], -1, 0
	s_lshl_b64 s[52:53], s[52:53], 3
	s_lshl_b64 s[54:55], s[36:37], 3
	s_add_u32 s37, s52, s54
	s_addc_u32 s53, s53, s55
	s_add_u32 s52, s77, s37
	s_addc_u32 s53, s78, s53
	s_lshl_b64 s[6:7], s[6:7], 3
	v_mov_b32_e32 v2, s7
	v_add_co_u32_e32 v6, vcc, s6, v22
	v_addc_co_u32_e32 v7, vcc, v23, v2, vcc
	s_mov_b64 s[54:55], 0
	v_mov_b32_e32 v5, s87
	v_mov_b32_e32 v2, v0
	s_branch .LBB5_15
.LBB5_14:                               ;   in Loop: Header=BB5_15 Depth=2
	v_lshlrev_b64 v[10:11], 3, v[2:3]
	v_add_co_u32_e32 v10, vcc, s86, v10
	v_addc_co_u32_e32 v11, vcc, v5, v11, vcc
	global_load_dwordx2 v[12:13], v[10:11], off
	v_xor_b32_e32 v14, 0x80000000, v8
	v_mov_b32_e32 v32, v9
	v_mul_f32_e32 v17, 0, v8
	v_add_u32_e32 v2, 0x100, v2
	v_add_co_u32_e32 v6, vcc, 0x800, v6
	v_cmp_lt_i32_e64 s[6:7], s36, v2
	s_or_b64 s[54:55], s[6:7], s[54:55]
	v_addc_co_u32_e32 v7, vcc, 0, v7, vcc
	s_waitcnt vmcnt(0)
	v_mov_b32_e32 v33, v12
	v_mov_b32_e32 v15, v13
	v_mul_f32_e32 v8, 0, v13
	v_mov_b32_e32 v16, v12
	v_pk_fma_f32 v[12:13], v[32:33], 0, v[14:15] op_sel_hi:[1,0,1] neg_lo:[1,0,0] neg_hi:[1,0,0]
	v_pk_fma_f32 v[14:15], v[32:33], 0, v[14:15] op_sel_hi:[1,0,1]
	v_pk_add_f32 v[8:9], v[16:17], v[8:9] neg_lo:[0,1] neg_hi:[0,1]
	v_mov_b32_e32 v13, v15
	v_pk_add_f32 v[8:9], v[12:13], v[8:9]
	global_store_dwordx2 v[10:11], v[8:9], off
	s_andn2_b64 exec, exec, s[54:55]
	s_cbranch_execz .LBB5_19
.LBB5_15:                               ;   Parent Loop BB5_5 Depth=1
                                        ; =>  This Loop Header: Depth=2
                                        ;       Child Loop BB5_17 Depth 3
	s_andn2_b64 vcc, exec, s[12:13]
	v_mov_b32_e32 v9, 0
	v_mov_b32_e32 v8, 0
	s_cbranch_vccnz .LBB5_14
; %bb.16:                               ;   in Loop: Header=BB5_15 Depth=2
	v_mov_b32_e32 v9, 0
	v_pk_mov_b32 v[10:11], v[6:7], v[6:7] op_sel:[0,1]
	s_mov_b64 s[6:7], s[52:53]
	s_mov_b32 s37, s45
	v_mov_b32_e32 v8, 0
.LBB5_17:                               ;   Parent Loop BB5_5 Depth=1
                                        ;     Parent Loop BB5_15 Depth=2
                                        ; =>    This Inner Loop Header: Depth=3
	global_load_dwordx2 v[12:13], v[10:11], off
	global_load_dwordx2 v[14:15], v3, s[6:7] offset:-4
	s_add_i32 s37, s37, -1
	s_add_u32 s6, s6, s38
	v_add_co_u32_e32 v10, vcc, s40, v10
	s_addc_u32 s7, s7, s39
	v_addc_co_u32_e32 v11, vcc, v11, v30, vcc
	s_cmp_eq_u32 s37, 0
	s_waitcnt vmcnt(0)
	v_mul_f32_e32 v16, v15, v13
	v_mul_f32_e32 v13, v14, v13
	v_fma_f32 v14, v14, v12, -v16
	v_fmac_f32_e32 v13, v15, v12
	v_add_f32_e32 v8, v8, v14
	v_add_f32_e32 v9, v9, v13
	s_cbranch_scc0 .LBB5_17
	s_branch .LBB5_14
.LBB5_18:                               ;   in Loop: Header=BB5_5 Depth=1
	s_cbranch_execz .LBB5_5
	s_branch .LBB5_228
.LBB5_19:                               ;   in Loop: Header=BB5_5 Depth=1
	s_or_b64 exec, exec, s[10:11]
	s_barrier
.LBB5_20:                               ;   in Loop: Header=BB5_5 Depth=1
	v_cmp_gt_i32_e64 s[6:7], s36, v0
	v_mov_b32_e32 v5, 0
	v_bfrev_b32_e32 v2, -2
	s_and_saveexec_b64 s[52:53], s[6:7]
	s_cbranch_execz .LBB5_24
; %bb.21:                               ;   in Loop: Header=BB5_5 Depth=1
	s_lshl_b64 s[10:11], s[48:49], 3
	v_mov_b32_e32 v2, s11
	v_add_co_u32_e32 v6, vcc, s10, v25
	v_addc_co_u32_e32 v7, vcc, v26, v2, vcc
	s_mov_b64 s[54:55], 0
	v_mov_b32_e32 v5, 0
	v_bfrev_b32_e32 v2, -2
	v_mov_b32_e32 v8, v0
.LBB5_22:                               ;   Parent Loop BB5_5 Depth=1
                                        ; =>  This Inner Loop Header: Depth=2
	global_load_dwordx2 v[10:11], v[6:7], off
	v_add_co_u32_e32 v6, vcc, 0x800, v6
	v_cmp_eq_u32_e64 s[10:11], s83, v2
	v_add_u32_e32 v9, 1, v8
	v_add_u32_e32 v8, 0x100, v8
	v_addc_co_u32_e32 v7, vcc, 0, v7, vcc
	v_cmp_le_i32_e32 vcc, s36, v8
	s_waitcnt vmcnt(0)
	v_cmp_gt_f32_e64 s[12:13], 0, v11
	v_cndmask_b32_e64 v11, v11, -v11, s[12:13]
	v_cmp_gt_f32_e64 s[12:13], 0, v10
	v_cndmask_b32_e64 v10, v10, -v10, s[12:13]
	v_add_f32_e32 v10, v10, v11
	v_cmp_lt_f32_e64 s[12:13], v5, v10
	s_or_b64 s[10:11], s[12:13], s[10:11]
	v_cndmask_b32_e64 v2, v2, v9, s[10:11]
	s_or_b64 s[54:55], vcc, s[54:55]
	v_cndmask_b32_e64 v5, v5, v10, s[10:11]
	s_andn2_b64 exec, exec, s[54:55]
	s_cbranch_execnz .LBB5_22
; %bb.23:                               ;   in Loop: Header=BB5_5 Depth=1
	s_or_b64 exec, exec, s[54:55]
.LBB5_24:                               ;   in Loop: Header=BB5_5 Depth=1
	s_or_b64 exec, exec, s[52:53]
	s_cmp_lt_i32 s36, 2
	ds_write_b32 v20, v5
	ds_write_b32 v19, v2
	s_waitcnt lgkmcnt(0)
	s_barrier
	s_cbranch_scc1 .LBB5_59
; %bb.25:                               ;   in Loop: Header=BB5_5 Depth=1
	s_and_saveexec_b64 s[12:13], s[2:3]
	s_cbranch_execz .LBB5_31
; %bb.26:                               ;   in Loop: Header=BB5_5 Depth=1
	ds_read_b32 v6, v20 offset:512
	ds_read_b32 v7, v19 offset:512
	s_waitcnt lgkmcnt(1)
	v_cmp_lt_f32_e64 s[52:53], v5, v6
	v_cmp_nlt_f32_e32 vcc, v5, v6
	s_and_saveexec_b64 s[54:55], vcc
	s_cbranch_execz .LBB5_28
; %bb.27:                               ;   in Loop: Header=BB5_5 Depth=1
	v_cmp_eq_f32_e32 vcc, v5, v6
	s_waitcnt lgkmcnt(0)
	v_cmp_gt_i32_e64 s[10:11], v2, v7
	s_and_b64 s[10:11], vcc, s[10:11]
	s_andn2_b64 s[52:53], s[52:53], exec
	s_and_b64 s[10:11], s[10:11], exec
	s_or_b64 s[52:53], s[52:53], s[10:11]
.LBB5_28:                               ;   in Loop: Header=BB5_5 Depth=1
	s_or_b64 exec, exec, s[54:55]
	s_and_saveexec_b64 s[10:11], s[52:53]
	s_cbranch_execz .LBB5_30
; %bb.29:                               ;   in Loop: Header=BB5_5 Depth=1
	v_mov_b32_e32 v5, v6
	s_waitcnt lgkmcnt(0)
	v_mov_b32_e32 v2, v7
	ds_write_b32 v20, v6
	ds_write_b32 v19, v7
.LBB5_30:                               ;   in Loop: Header=BB5_5 Depth=1
	s_or_b64 exec, exec, s[10:11]
.LBB5_31:                               ;   in Loop: Header=BB5_5 Depth=1
	s_or_b64 exec, exec, s[12:13]
	s_waitcnt lgkmcnt(0)
	s_barrier
	s_and_saveexec_b64 s[52:53], s[4:5]
	s_cbranch_execz .LBB5_58
; %bb.32:                               ;   in Loop: Header=BB5_5 Depth=1
	ds_read_b32 v6, v20 offset:256
	ds_read_b32 v7, v19 offset:256
	s_waitcnt lgkmcnt(1)
	v_cmp_lt_f32_e64 s[12:13], v5, v6
	v_cmp_nlt_f32_e32 vcc, v5, v6
	s_and_saveexec_b64 s[54:55], vcc
	s_cbranch_execz .LBB5_34
; %bb.33:                               ;   in Loop: Header=BB5_5 Depth=1
	v_cmp_eq_f32_e32 vcc, v5, v6
	s_waitcnt lgkmcnt(0)
	v_cmp_gt_i32_e64 s[10:11], v2, v7
	s_and_b64 s[10:11], vcc, s[10:11]
	s_andn2_b64 s[12:13], s[12:13], exec
	s_and_b64 s[10:11], s[10:11], exec
	s_or_b64 s[12:13], s[12:13], s[10:11]
.LBB5_34:                               ;   in Loop: Header=BB5_5 Depth=1
	s_or_b64 exec, exec, s[54:55]
	s_and_saveexec_b64 s[10:11], s[12:13]
	s_cbranch_execz .LBB5_36
; %bb.35:                               ;   in Loop: Header=BB5_5 Depth=1
	s_waitcnt lgkmcnt(0)
	v_mov_b32_e32 v2, v7
	v_mov_b32_e32 v5, v6
	ds_write_b32 v20, v6
	ds_write_b32 v19, v7
.LBB5_36:                               ;   in Loop: Header=BB5_5 Depth=1
	s_or_b64 exec, exec, s[10:11]
	ds_read_b32 v6, v20 offset:128
	s_waitcnt lgkmcnt(1)
	ds_read_b32 v7, v19 offset:128
	s_waitcnt lgkmcnt(1)
	v_cmp_lt_f32_e64 s[12:13], v5, v6
	v_cmp_nlt_f32_e32 vcc, v5, v6
	s_and_saveexec_b64 s[54:55], vcc
	s_cbranch_execz .LBB5_38
; %bb.37:                               ;   in Loop: Header=BB5_5 Depth=1
	v_cmp_eq_f32_e32 vcc, v5, v6
	s_waitcnt lgkmcnt(0)
	v_cmp_gt_i32_e64 s[10:11], v2, v7
	s_and_b64 s[10:11], vcc, s[10:11]
	s_andn2_b64 s[12:13], s[12:13], exec
	s_and_b64 s[10:11], s[10:11], exec
	s_or_b64 s[12:13], s[12:13], s[10:11]
.LBB5_38:                               ;   in Loop: Header=BB5_5 Depth=1
	s_or_b64 exec, exec, s[54:55]
	s_and_saveexec_b64 s[10:11], s[12:13]
	s_cbranch_execz .LBB5_40
; %bb.39:                               ;   in Loop: Header=BB5_5 Depth=1
	s_waitcnt lgkmcnt(0)
	v_mov_b32_e32 v2, v7
	v_mov_b32_e32 v5, v6
	ds_write_b32 v20, v6
	ds_write_b32 v19, v7
.LBB5_40:                               ;   in Loop: Header=BB5_5 Depth=1
	s_or_b64 exec, exec, s[10:11]
	ds_read_b32 v6, v20 offset:64
	s_waitcnt lgkmcnt(1)
	;; [unrolled: 28-line block ×6, first 2 shown]
	ds_read_b32 v7, v19 offset:4
	s_waitcnt lgkmcnt(1)
	v_cmp_eq_f32_e64 s[10:11], v5, v6
	s_waitcnt lgkmcnt(0)
	v_cmp_gt_i32_e64 s[12:13], v2, v7
	v_cmp_lt_f32_e32 vcc, v5, v6
	s_and_b64 s[10:11], s[10:11], s[12:13]
	s_or_b64 s[10:11], vcc, s[10:11]
	s_and_b64 exec, exec, s[10:11]
	s_cbranch_execz .LBB5_58
; %bb.57:                               ;   in Loop: Header=BB5_5 Depth=1
	ds_write_b32 v20, v6
	ds_write_b32 v19, v7
.LBB5_58:                               ;   in Loop: Header=BB5_5 Depth=1
	s_or_b64 exec, exec, s[52:53]
.LBB5_59:                               ;   in Loop: Header=BB5_5 Depth=1
	s_and_saveexec_b64 s[10:11], s[0:1]
	s_cbranch_execz .LBB5_61
; %bb.60:                               ;   in Loop: Header=BB5_5 Depth=1
	s_add_i32 s12, s48, s36
	s_ashr_i32 s13, s12, 31
	s_lshl_b64 s[12:13], s[12:13], 3
	s_add_u32 s12, s59, s12
	s_addc_u32 s13, s60, s13
	global_load_dwordx2 v[6:7], v3, s[12:13]
	ds_read2st64_b32 v[8:9], v3 offset1:4
	s_waitcnt lgkmcnt(0)
	v_add_u32_e32 v2, -1, v8
	ds_write_b32 v3, v2 offset:2048
	s_waitcnt vmcnt(0)
	v_cmp_gt_f32_e32 vcc, 0, v7
	v_cndmask_b32_e64 v2, v7, -v7, vcc
	v_cmp_gt_f32_e32 vcc, 0, v6
	v_cndmask_b32_e64 v5, v6, -v6, vcc
	v_add_f32_e32 v8, v5, v2
	ds_write_b64 v3, v[8:9] offset:2056
.LBB5_61:                               ;   in Loop: Header=BB5_5 Depth=1
	s_or_b64 exec, exec, s[10:11]
	s_waitcnt lgkmcnt(0)
	s_barrier
	ds_read_b64 v[6:7], v3 offset:2056
	s_waitcnt lgkmcnt(0)
	v_cmp_lt_f32_e32 vcc, v6, v7
	v_cndmask_b32_e32 v2, v6, v7, vcc
	v_cmp_neq_f32_e32 vcc, 0, v2
	s_cbranch_vccz .LBB5_78
; %bb.62:                               ;   in Loop: Header=BB5_5 Depth=1
	v_mul_f32_e32 v2, 0x3f23f07b, v7
	v_cmp_ge_f32_e32 vcc, v6, v2
	s_cbranch_vccnz .LBB5_170
; %bb.63:                               ;   in Loop: Header=BB5_5 Depth=1
	ds_read_b32 v2, v3 offset:2048
	s_waitcnt lgkmcnt(0)
	v_readfirstlane_b32 s37, v2
	v_cmp_ge_i32_e32 vcc, v2, v0
	s_and_saveexec_b64 s[10:11], vcc
	s_cbranch_execz .LBB5_66
; %bb.64:                               ;   in Loop: Header=BB5_5 Depth=1
	s_add_i32 s13, s85, -1
	s_mul_i32 s13, s13, s22
	v_add_u32_e32 v6, s13, v0
	s_mul_i32 s12, s37, s21
	v_ashrrev_i32_e32 v7, 31, v6
	v_lshlrev_b64 v[6:7], 3, v[6:7]
	v_add_u32_e32 v8, s12, v0
	v_mov_b32_e32 v2, s74
	v_add_co_u32_e32 v6, vcc, s73, v6
	v_ashrrev_i32_e32 v9, 31, v8
	v_addc_co_u32_e32 v7, vcc, v2, v7, vcc
	v_lshlrev_b64 v[8:9], 3, v[8:9]
	v_mov_b32_e32 v2, s76
	v_add_co_u32_e32 v8, vcc, s75, v8
	v_addc_co_u32_e32 v9, vcc, v2, v9, vcc
	s_mov_b64 s[12:13], 0
	v_mov_b32_e32 v2, v0
.LBB5_65:                               ;   Parent Loop BB5_5 Depth=1
                                        ; =>  This Inner Loop Header: Depth=2
	global_load_dwordx2 v[10:11], v[8:9], off
	v_add_u32_e32 v2, 0x100, v2
	v_cmp_lt_i32_e32 vcc, s37, v2
	s_or_b64 s[12:13], vcc, s[12:13]
	s_waitcnt vmcnt(0)
	global_store_dwordx2 v[6:7], v[10:11], off
	v_add_co_u32_e32 v6, vcc, 0x800, v6
	v_addc_co_u32_e32 v7, vcc, 0, v7, vcc
	v_add_co_u32_e32 v8, vcc, 0x800, v8
	v_addc_co_u32_e32 v9, vcc, 0, v9, vcc
	s_andn2_b64 exec, exec, s[12:13]
	s_cbranch_execnz .LBB5_65
.LBB5_66:                               ;   in Loop: Header=BB5_5 Depth=1
	s_or_b64 exec, exec, s[10:11]
	s_sub_i32 s45, s36, s37
	v_cmp_gt_i32_e32 vcc, s45, v0
	s_and_saveexec_b64 s[10:11], vcc
	s_cbranch_execz .LBB5_69
; %bb.67:                               ;   in Loop: Header=BB5_5 Depth=1
	s_add_i32 s12, s85, -1
	s_mul_i32 s12, s12, s22
	v_add_u32_e32 v2, s37, v1
	s_add_i32 s49, s37, s12
	v_mul_lo_u32 v2, s21, v2
	s_add_i32 s49, s49, 1
	v_add_u32_e32 v6, s37, v2
	s_mov_b64 s[12:13], 0
	v_mov_b32_e32 v2, v0
.LBB5_68:                               ;   Parent Loop BB5_5 Depth=1
                                        ; =>  This Inner Loop Header: Depth=2
	v_ashrrev_i32_e32 v7, 31, v6
	v_lshlrev_b64 v[8:9], 3, v[6:7]
	v_mov_b32_e32 v5, s42
	v_add_co_u32_e32 v8, vcc, s33, v8
	v_addc_co_u32_e32 v9, vcc, v5, v9, vcc
	global_load_dwordx2 v[8:9], v[8:9], off
	v_add_u32_e32 v10, s49, v2
	v_add_u32_e32 v2, 0x100, v2
	v_ashrrev_i32_e32 v11, 31, v10
	v_cmp_le_i32_e32 vcc, s45, v2
	v_lshlrev_b64 v[10:11], 3, v[10:11]
	v_mov_b32_e32 v5, s60
	s_or_b64 s[12:13], vcc, s[12:13]
	v_add_co_u32_e32 v10, vcc, s59, v10
	v_add_u32_e32 v6, s79, v6
	v_addc_co_u32_e32 v11, vcc, v5, v11, vcc
	s_waitcnt vmcnt(0)
	global_store_dwordx2 v[10:11], v[8:9], off
	s_andn2_b64 exec, exec, s[12:13]
	s_cbranch_execnz .LBB5_68
.LBB5_69:                               ;   in Loop: Header=BB5_5 Depth=1
	s_or_b64 exec, exec, s[10:11]
	s_andn2_b64 vcc, exec, s[50:51]
	s_mov_b64 s[10:11], -1
	s_barrier
	s_waitcnt lgkmcnt(0)
                                        ; implicit-def: $sgpr50
	s_cbranch_vccnz .LBB5_71
; %bb.70:                               ;   in Loop: Header=BB5_5 Depth=1
	s_add_i32 s10, s85, -1
	s_mul_i32 s50, s10, s22
	s_ashr_i32 s51, s50, 31
	s_mov_b64 s[10:11], 0
.LBB5_71:                               ;   in Loop: Header=BB5_5 Depth=1
	s_andn2_b64 vcc, exec, s[10:11]
	s_cbranch_vccnz .LBB5_80
; %bb.72:                               ;   in Loop: Header=BB5_5 Depth=1
	s_add_i32 s10, s85, 1
	s_mul_i32 s10, s10, s22
	s_sub_i32 s50, s10, s64
	s_ashr_i32 s51, s50, 31
	s_and_saveexec_b64 s[12:13], s[8:9]
	s_cbranch_execz .LBB5_79
; %bb.73:                               ;   in Loop: Header=BB5_5 Depth=1
	s_add_i32 s11, s36, 1
	ds_read_b32 v6, v3 offset:2048
	s_not_b32 s37, s36
	s_mul_i32 s54, s11, s21
	s_add_i32 s37, s37, s22
	s_ashr_i32 s55, s54, 31
	s_ashr_i32 s11, s10, 31
	s_lshl_b64 s[52:53], s[50:51], 3
	s_add_u32 s45, s59, s52
	s_addc_u32 s49, s60, s53
	s_waitcnt lgkmcnt(0)
	v_ashrrev_i32_e32 v7, 31, v6
	s_cmp_gt_i32 s37, 0
	s_cselect_b64 s[52:53], -1, 0
	v_lshlrev_b64 v[6:7], 3, v[6:7]
	s_lshl_b64 s[10:11], s[10:11], 3
	v_mov_b32_e32 v2, s11
	v_add_co_u32_e32 v5, vcc, s10, v6
	v_addc_co_u32_e32 v2, vcc, v7, v2, vcc
	v_mov_b32_e32 v7, s78
	v_add_co_u32_e32 v6, vcc, s77, v5
	v_addc_co_u32_e32 v7, vcc, v7, v2, vcc
	s_lshl_b64 s[10:11], s[54:55], 3
	v_mov_b32_e32 v2, s11
	v_add_co_u32_e32 v8, vcc, s10, v22
	v_addc_co_u32_e32 v9, vcc, v23, v2, vcc
	s_mov_b64 s[54:55], 0
	v_mov_b32_e32 v2, v0
	s_branch .LBB5_75
.LBB5_74:                               ;   in Loop: Header=BB5_75 Depth=2
	v_lshlrev_b64 v[12:13], 3, v[2:3]
	v_mov_b32_e32 v10, s49
	v_add_co_u32_e32 v12, vcc, s45, v12
	v_addc_co_u32_e32 v13, vcc, v10, v13, vcc
	global_load_dwordx2 v[14:15], v[12:13], off
	v_xor_b32_e32 v16, 0x80000000, v5
	v_mov_b32_e32 v34, v11
	v_mul_f32_e32 v33, 0, v5
	v_add_u32_e32 v2, 0x100, v2
	v_add_co_u32_e32 v8, vcc, 0x800, v8
	v_cmp_lt_i32_e64 s[10:11], s36, v2
	s_or_b64 s[54:55], s[10:11], s[54:55]
	v_addc_co_u32_e32 v9, vcc, 0, v9, vcc
	s_waitcnt vmcnt(0)
	v_mov_b32_e32 v35, v14
	v_mov_b32_e32 v17, v15
	v_mul_f32_e32 v10, 0, v15
	v_mov_b32_e32 v32, v14
	v_pk_fma_f32 v[14:15], v[34:35], 0, v[16:17] op_sel_hi:[1,0,1] neg_lo:[1,0,0] neg_hi:[1,0,0]
	v_pk_fma_f32 v[16:17], v[34:35], 0, v[16:17] op_sel_hi:[1,0,1]
	v_pk_add_f32 v[10:11], v[32:33], v[10:11] neg_lo:[0,1] neg_hi:[0,1]
	v_mov_b32_e32 v15, v17
	v_pk_add_f32 v[10:11], v[14:15], v[10:11]
	global_store_dwordx2 v[12:13], v[10:11], off
	s_andn2_b64 exec, exec, s[54:55]
	s_cbranch_execz .LBB5_79
.LBB5_75:                               ;   Parent Loop BB5_5 Depth=1
                                        ; =>  This Loop Header: Depth=2
                                        ;       Child Loop BB5_77 Depth 3
	s_andn2_b64 vcc, exec, s[52:53]
	v_mov_b32_e32 v11, 0
	v_mov_b32_e32 v5, 0
	s_cbranch_vccnz .LBB5_74
; %bb.76:                               ;   in Loop: Header=BB5_75 Depth=2
	v_mov_b32_e32 v11, 0
	v_pk_mov_b32 v[12:13], v[8:9], v[8:9] op_sel:[0,1]
	v_pk_mov_b32 v[14:15], v[6:7], v[6:7] op_sel:[0,1]
	s_mov_b32 s86, s37
	v_mov_b32_e32 v5, 0
.LBB5_77:                               ;   Parent Loop BB5_5 Depth=1
                                        ;     Parent Loop BB5_75 Depth=2
                                        ; =>    This Inner Loop Header: Depth=3
	global_load_dwordx2 v[16:17], v[12:13], off
	global_load_dwordx2 v[32:33], v[14:15], off offset:-4
	v_mov_b32_e32 v10, s39
	v_add_co_u32_e64 v14, s[10:11], s38, v14
	v_addc_co_u32_e64 v15, s[10:11], v15, v10, s[10:11]
	s_add_i32 s86, s86, -1
	v_mov_b32_e32 v31, s41
	v_add_co_u32_e32 v12, vcc, s40, v12
	v_addc_co_u32_e32 v13, vcc, v13, v31, vcc
	s_cmp_eq_u32 s86, 0
	s_waitcnt vmcnt(0)
	v_mul_f32_e32 v10, v33, v17
	v_mul_f32_e32 v17, v32, v17
	v_fma_f32 v10, v32, v16, -v10
	v_fmac_f32_e32 v17, v33, v16
	v_add_f32_e32 v5, v5, v10
	v_add_f32_e32 v11, v11, v17
	s_cbranch_scc0 .LBB5_77
	s_branch .LBB5_74
.LBB5_78:                               ;   in Loop: Header=BB5_5 Depth=1
                                        ; implicit-def: $sgpr49
                                        ; implicit-def: $sgpr12
                                        ; implicit-def: $sgpr8_sgpr9
	s_cbranch_execz .LBB5_189
	s_branch .LBB5_221
.LBB5_79:                               ;   in Loop: Header=BB5_5 Depth=1
	s_or_b64 exec, exec, s[12:13]
	s_barrier
.LBB5_80:                               ;   in Loop: Header=BB5_5 Depth=1
	ds_read_b32 v6, v3 offset:2048
	v_mov_b32_e32 v5, 0
	v_bfrev_b32_e32 v2, -2
	s_waitcnt lgkmcnt(0)
	v_sub_u32_e32 v8, s36, v6
	v_cmp_gt_i32_e32 vcc, v8, v0
	s_and_saveexec_b64 s[52:53], vcc
	s_cbranch_execz .LBB5_84
; %bb.81:                               ;   in Loop: Header=BB5_5 Depth=1
	v_ashrrev_i32_e32 v7, 31, v6
	s_lshl_b64 s[10:11], s[50:51], 3
	v_lshlrev_b64 v[6:7], 3, v[6:7]
	v_mov_b32_e32 v2, s11
	v_add_co_u32_e32 v5, vcc, s10, v6
	v_addc_co_u32_e32 v2, vcc, v2, v7, vcc
	v_add_co_u32_e32 v6, vcc, v27, v5
	v_addc_co_u32_e32 v7, vcc, v28, v2, vcc
	s_mov_b64 s[54:55], 0
	v_mov_b32_e32 v5, 0
	v_bfrev_b32_e32 v2, -2
	v_mov_b32_e32 v9, v0
.LBB5_82:                               ;   Parent Loop BB5_5 Depth=1
                                        ; =>  This Inner Loop Header: Depth=2
	global_load_dwordx2 v[10:11], v[6:7], off
	v_add_co_u32_e32 v6, vcc, 0x800, v6
	v_cmp_eq_u32_e64 s[10:11], s83, v2
	v_add_u32_e32 v12, 1, v9
	v_add_u32_e32 v9, 0x100, v9
	v_addc_co_u32_e32 v7, vcc, 0, v7, vcc
	v_cmp_ge_i32_e32 vcc, v9, v8
	s_waitcnt vmcnt(0)
	v_cmp_gt_f32_e64 s[12:13], 0, v11
	v_cndmask_b32_e64 v11, v11, -v11, s[12:13]
	v_cmp_gt_f32_e64 s[12:13], 0, v10
	v_cndmask_b32_e64 v10, v10, -v10, s[12:13]
	v_add_f32_e32 v10, v10, v11
	v_cmp_lt_f32_e64 s[12:13], v5, v10
	s_or_b64 s[10:11], s[12:13], s[10:11]
	v_cndmask_b32_e64 v2, v2, v12, s[10:11]
	s_or_b64 s[54:55], vcc, s[54:55]
	v_cndmask_b32_e64 v5, v5, v10, s[10:11]
	s_andn2_b64 exec, exec, s[54:55]
	s_cbranch_execnz .LBB5_82
; %bb.83:                               ;   in Loop: Header=BB5_5 Depth=1
	s_or_b64 exec, exec, s[54:55]
.LBB5_84:                               ;   in Loop: Header=BB5_5 Depth=1
	s_or_b64 exec, exec, s[52:53]
	v_cmp_gt_i32_e32 vcc, 2, v8
	s_and_b64 vcc, exec, vcc
	ds_write_b32 v20, v5
	ds_write_b32 v19, v2
	s_waitcnt lgkmcnt(0)
	s_barrier
	s_cbranch_vccnz .LBB5_119
; %bb.85:                               ;   in Loop: Header=BB5_5 Depth=1
	s_and_saveexec_b64 s[12:13], s[2:3]
	s_cbranch_execz .LBB5_91
; %bb.86:                               ;   in Loop: Header=BB5_5 Depth=1
	ds_read_b32 v6, v20 offset:512
	ds_read_b32 v7, v19 offset:512
	s_waitcnt lgkmcnt(1)
	v_cmp_lt_f32_e64 s[52:53], v5, v6
	v_cmp_nlt_f32_e32 vcc, v5, v6
	s_and_saveexec_b64 s[54:55], vcc
	s_cbranch_execz .LBB5_88
; %bb.87:                               ;   in Loop: Header=BB5_5 Depth=1
	v_cmp_eq_f32_e32 vcc, v5, v6
	s_waitcnt lgkmcnt(0)
	v_cmp_gt_i32_e64 s[10:11], v2, v7
	s_and_b64 s[10:11], vcc, s[10:11]
	s_andn2_b64 s[52:53], s[52:53], exec
	s_and_b64 s[10:11], s[10:11], exec
	s_or_b64 s[52:53], s[52:53], s[10:11]
.LBB5_88:                               ;   in Loop: Header=BB5_5 Depth=1
	s_or_b64 exec, exec, s[54:55]
	s_and_saveexec_b64 s[10:11], s[52:53]
	s_cbranch_execz .LBB5_90
; %bb.89:                               ;   in Loop: Header=BB5_5 Depth=1
	v_mov_b32_e32 v5, v6
	s_waitcnt lgkmcnt(0)
	v_mov_b32_e32 v2, v7
	ds_write_b32 v20, v6
	ds_write_b32 v19, v7
.LBB5_90:                               ;   in Loop: Header=BB5_5 Depth=1
	s_or_b64 exec, exec, s[10:11]
.LBB5_91:                               ;   in Loop: Header=BB5_5 Depth=1
	s_or_b64 exec, exec, s[12:13]
	s_waitcnt lgkmcnt(0)
	s_barrier
	s_and_saveexec_b64 s[52:53], s[4:5]
	s_cbranch_execz .LBB5_118
; %bb.92:                               ;   in Loop: Header=BB5_5 Depth=1
	ds_read_b32 v6, v20 offset:256
	ds_read_b32 v7, v19 offset:256
	s_waitcnt lgkmcnt(1)
	v_cmp_lt_f32_e64 s[12:13], v5, v6
	v_cmp_nlt_f32_e32 vcc, v5, v6
	s_and_saveexec_b64 s[54:55], vcc
	s_cbranch_execz .LBB5_94
; %bb.93:                               ;   in Loop: Header=BB5_5 Depth=1
	v_cmp_eq_f32_e32 vcc, v5, v6
	s_waitcnt lgkmcnt(0)
	v_cmp_gt_i32_e64 s[10:11], v2, v7
	s_and_b64 s[10:11], vcc, s[10:11]
	s_andn2_b64 s[12:13], s[12:13], exec
	s_and_b64 s[10:11], s[10:11], exec
	s_or_b64 s[12:13], s[12:13], s[10:11]
.LBB5_94:                               ;   in Loop: Header=BB5_5 Depth=1
	s_or_b64 exec, exec, s[54:55]
	s_and_saveexec_b64 s[10:11], s[12:13]
	s_cbranch_execz .LBB5_96
; %bb.95:                               ;   in Loop: Header=BB5_5 Depth=1
	s_waitcnt lgkmcnt(0)
	v_mov_b32_e32 v2, v7
	v_mov_b32_e32 v5, v6
	ds_write_b32 v20, v6
	ds_write_b32 v19, v7
.LBB5_96:                               ;   in Loop: Header=BB5_5 Depth=1
	s_or_b64 exec, exec, s[10:11]
	ds_read_b32 v6, v20 offset:128
	s_waitcnt lgkmcnt(1)
	ds_read_b32 v7, v19 offset:128
	s_waitcnt lgkmcnt(1)
	v_cmp_lt_f32_e64 s[12:13], v5, v6
	v_cmp_nlt_f32_e32 vcc, v5, v6
	s_and_saveexec_b64 s[54:55], vcc
	s_cbranch_execz .LBB5_98
; %bb.97:                               ;   in Loop: Header=BB5_5 Depth=1
	v_cmp_eq_f32_e32 vcc, v5, v6
	s_waitcnt lgkmcnt(0)
	v_cmp_gt_i32_e64 s[10:11], v2, v7
	s_and_b64 s[10:11], vcc, s[10:11]
	s_andn2_b64 s[12:13], s[12:13], exec
	s_and_b64 s[10:11], s[10:11], exec
	s_or_b64 s[12:13], s[12:13], s[10:11]
.LBB5_98:                               ;   in Loop: Header=BB5_5 Depth=1
	s_or_b64 exec, exec, s[54:55]
	s_and_saveexec_b64 s[10:11], s[12:13]
	s_cbranch_execz .LBB5_100
; %bb.99:                               ;   in Loop: Header=BB5_5 Depth=1
	s_waitcnt lgkmcnt(0)
	v_mov_b32_e32 v2, v7
	v_mov_b32_e32 v5, v6
	ds_write_b32 v20, v6
	ds_write_b32 v19, v7
.LBB5_100:                              ;   in Loop: Header=BB5_5 Depth=1
	s_or_b64 exec, exec, s[10:11]
	ds_read_b32 v6, v20 offset:64
	s_waitcnt lgkmcnt(1)
	ds_read_b32 v7, v19 offset:64
	s_waitcnt lgkmcnt(1)
	v_cmp_lt_f32_e64 s[12:13], v5, v6
	v_cmp_nlt_f32_e32 vcc, v5, v6
	s_and_saveexec_b64 s[54:55], vcc
	s_cbranch_execz .LBB5_102
; %bb.101:                              ;   in Loop: Header=BB5_5 Depth=1
	v_cmp_eq_f32_e32 vcc, v5, v6
	s_waitcnt lgkmcnt(0)
	v_cmp_gt_i32_e64 s[10:11], v2, v7
	s_and_b64 s[10:11], vcc, s[10:11]
	s_andn2_b64 s[12:13], s[12:13], exec
	s_and_b64 s[10:11], s[10:11], exec
	s_or_b64 s[12:13], s[12:13], s[10:11]
.LBB5_102:                              ;   in Loop: Header=BB5_5 Depth=1
	s_or_b64 exec, exec, s[54:55]
	s_and_saveexec_b64 s[10:11], s[12:13]
	s_cbranch_execz .LBB5_104
; %bb.103:                              ;   in Loop: Header=BB5_5 Depth=1
	s_waitcnt lgkmcnt(0)
	v_mov_b32_e32 v2, v7
	v_mov_b32_e32 v5, v6
	ds_write_b32 v20, v6
	ds_write_b32 v19, v7
.LBB5_104:                              ;   in Loop: Header=BB5_5 Depth=1
	s_or_b64 exec, exec, s[10:11]
	ds_read_b32 v6, v20 offset:32
	s_waitcnt lgkmcnt(1)
	ds_read_b32 v7, v19 offset:32
	s_waitcnt lgkmcnt(1)
	v_cmp_lt_f32_e64 s[12:13], v5, v6
	v_cmp_nlt_f32_e32 vcc, v5, v6
	s_and_saveexec_b64 s[54:55], vcc
	s_cbranch_execz .LBB5_106
; %bb.105:                              ;   in Loop: Header=BB5_5 Depth=1
	v_cmp_eq_f32_e32 vcc, v5, v6
	s_waitcnt lgkmcnt(0)
	v_cmp_gt_i32_e64 s[10:11], v2, v7
	s_and_b64 s[10:11], vcc, s[10:11]
	s_andn2_b64 s[12:13], s[12:13], exec
	s_and_b64 s[10:11], s[10:11], exec
	s_or_b64 s[12:13], s[12:13], s[10:11]
.LBB5_106:                              ;   in Loop: Header=BB5_5 Depth=1
	s_or_b64 exec, exec, s[54:55]
	s_and_saveexec_b64 s[10:11], s[12:13]
	s_cbranch_execz .LBB5_108
; %bb.107:                              ;   in Loop: Header=BB5_5 Depth=1
	s_waitcnt lgkmcnt(0)
	v_mov_b32_e32 v2, v7
	v_mov_b32_e32 v5, v6
	ds_write_b32 v20, v6
	ds_write_b32 v19, v7
.LBB5_108:                              ;   in Loop: Header=BB5_5 Depth=1
	;; [unrolled: 28-line block ×4, first 2 shown]
	s_or_b64 exec, exec, s[10:11]
	ds_read_b32 v6, v20 offset:4
	s_waitcnt lgkmcnt(1)
	ds_read_b32 v7, v19 offset:4
	s_waitcnt lgkmcnt(1)
	v_cmp_eq_f32_e64 s[10:11], v5, v6
	s_waitcnt lgkmcnt(0)
	v_cmp_gt_i32_e64 s[12:13], v2, v7
	v_cmp_lt_f32_e32 vcc, v5, v6
	s_and_b64 s[10:11], s[10:11], s[12:13]
	s_or_b64 s[10:11], vcc, s[10:11]
	s_and_b64 exec, exec, s[10:11]
	s_cbranch_execz .LBB5_118
; %bb.117:                              ;   in Loop: Header=BB5_5 Depth=1
	ds_write_b32 v20, v6
	ds_write_b32 v19, v7
.LBB5_118:                              ;   in Loop: Header=BB5_5 Depth=1
	s_or_b64 exec, exec, s[52:53]
.LBB5_119:                              ;   in Loop: Header=BB5_5 Depth=1
	s_and_saveexec_b64 s[10:11], s[0:1]
	s_cbranch_execz .LBB5_121
; %bb.120:                              ;   in Loop: Header=BB5_5 Depth=1
	ds_read_b32 v2, v3 offset:1024
	s_waitcnt lgkmcnt(0)
	ds_write_b32 v3, v2 offset:2064
.LBB5_121:                              ;   in Loop: Header=BB5_5 Depth=1
	s_or_b64 exec, exec, s[10:11]
	ds_read_b32 v8, v3 offset:2048
	s_waitcnt lgkmcnt(0)
	v_cmp_gt_i32_e32 vcc, 1, v8
	s_cbranch_vccnz .LBB5_164
; %bb.122:                              ;   in Loop: Header=BB5_5 Depth=1
	v_cmp_gt_i32_e32 vcc, v8, v0
	v_mov_b32_e32 v5, 0
	v_bfrev_b32_e32 v2, -2
	s_and_saveexec_b64 s[52:53], vcc
	s_cbranch_execz .LBB5_126
; %bb.123:                              ;   in Loop: Header=BB5_5 Depth=1
	s_lshl_b64 s[10:11], s[50:51], 3
	v_mov_b32_e32 v2, s11
	v_add_co_u32_e32 v6, vcc, s10, v25
	v_addc_co_u32_e32 v7, vcc, v26, v2, vcc
	s_mov_b64 s[54:55], 0
	v_mov_b32_e32 v5, 0
	v_bfrev_b32_e32 v2, -2
	v_mov_b32_e32 v9, v0
.LBB5_124:                              ;   Parent Loop BB5_5 Depth=1
                                        ; =>  This Inner Loop Header: Depth=2
	global_load_dwordx2 v[10:11], v[6:7], off
	v_add_co_u32_e32 v6, vcc, 0x800, v6
	v_cmp_eq_u32_e64 s[10:11], s83, v2
	v_add_u32_e32 v12, 1, v9
	v_add_u32_e32 v9, 0x100, v9
	v_addc_co_u32_e32 v7, vcc, 0, v7, vcc
	v_cmp_ge_i32_e32 vcc, v9, v8
	s_waitcnt vmcnt(0)
	v_cmp_gt_f32_e64 s[12:13], 0, v11
	v_cndmask_b32_e64 v11, v11, -v11, s[12:13]
	v_cmp_gt_f32_e64 s[12:13], 0, v10
	v_cndmask_b32_e64 v10, v10, -v10, s[12:13]
	v_add_f32_e32 v10, v10, v11
	v_cmp_lt_f32_e64 s[12:13], v5, v10
	s_or_b64 s[10:11], s[12:13], s[10:11]
	v_cndmask_b32_e64 v2, v2, v12, s[10:11]
	s_or_b64 s[54:55], vcc, s[54:55]
	v_cndmask_b32_e64 v5, v5, v10, s[10:11]
	s_andn2_b64 exec, exec, s[54:55]
	s_cbranch_execnz .LBB5_124
; %bb.125:                              ;   in Loop: Header=BB5_5 Depth=1
	s_or_b64 exec, exec, s[54:55]
.LBB5_126:                              ;   in Loop: Header=BB5_5 Depth=1
	s_or_b64 exec, exec, s[52:53]
	v_cmp_eq_u32_e32 vcc, 1, v8
	s_and_b64 vcc, exec, vcc
	ds_write_b32 v20, v5
	ds_write_b32 v19, v2
	s_waitcnt lgkmcnt(0)
	s_barrier
	s_cbranch_vccnz .LBB5_161
; %bb.127:                              ;   in Loop: Header=BB5_5 Depth=1
	s_and_saveexec_b64 s[12:13], s[2:3]
	s_cbranch_execz .LBB5_133
; %bb.128:                              ;   in Loop: Header=BB5_5 Depth=1
	ds_read_b32 v6, v20 offset:512
	ds_read_b32 v7, v19 offset:512
	s_waitcnt lgkmcnt(1)
	v_cmp_lt_f32_e64 s[52:53], v5, v6
	v_cmp_nlt_f32_e32 vcc, v5, v6
	s_and_saveexec_b64 s[54:55], vcc
	s_cbranch_execz .LBB5_130
; %bb.129:                              ;   in Loop: Header=BB5_5 Depth=1
	v_cmp_eq_f32_e32 vcc, v5, v6
	s_waitcnt lgkmcnt(0)
	v_cmp_gt_i32_e64 s[10:11], v2, v7
	s_and_b64 s[10:11], vcc, s[10:11]
	s_andn2_b64 s[52:53], s[52:53], exec
	s_and_b64 s[10:11], s[10:11], exec
	s_or_b64 s[52:53], s[52:53], s[10:11]
.LBB5_130:                              ;   in Loop: Header=BB5_5 Depth=1
	s_or_b64 exec, exec, s[54:55]
	s_and_saveexec_b64 s[10:11], s[52:53]
	s_cbranch_execz .LBB5_132
; %bb.131:                              ;   in Loop: Header=BB5_5 Depth=1
	v_mov_b32_e32 v5, v6
	s_waitcnt lgkmcnt(0)
	v_mov_b32_e32 v2, v7
	ds_write_b32 v20, v6
	ds_write_b32 v19, v7
.LBB5_132:                              ;   in Loop: Header=BB5_5 Depth=1
	s_or_b64 exec, exec, s[10:11]
.LBB5_133:                              ;   in Loop: Header=BB5_5 Depth=1
	s_or_b64 exec, exec, s[12:13]
	s_waitcnt lgkmcnt(0)
	s_barrier
	s_and_saveexec_b64 s[52:53], s[4:5]
	s_cbranch_execz .LBB5_160
; %bb.134:                              ;   in Loop: Header=BB5_5 Depth=1
	ds_read_b32 v6, v20 offset:256
	ds_read_b32 v7, v19 offset:256
	s_waitcnt lgkmcnt(1)
	v_cmp_lt_f32_e64 s[12:13], v5, v6
	v_cmp_nlt_f32_e32 vcc, v5, v6
	s_and_saveexec_b64 s[54:55], vcc
	s_cbranch_execz .LBB5_136
; %bb.135:                              ;   in Loop: Header=BB5_5 Depth=1
	v_cmp_eq_f32_e32 vcc, v5, v6
	s_waitcnt lgkmcnt(0)
	v_cmp_gt_i32_e64 s[10:11], v2, v7
	s_and_b64 s[10:11], vcc, s[10:11]
	s_andn2_b64 s[12:13], s[12:13], exec
	s_and_b64 s[10:11], s[10:11], exec
	s_or_b64 s[12:13], s[12:13], s[10:11]
.LBB5_136:                              ;   in Loop: Header=BB5_5 Depth=1
	s_or_b64 exec, exec, s[54:55]
	s_and_saveexec_b64 s[10:11], s[12:13]
	s_cbranch_execz .LBB5_138
; %bb.137:                              ;   in Loop: Header=BB5_5 Depth=1
	s_waitcnt lgkmcnt(0)
	v_mov_b32_e32 v2, v7
	v_mov_b32_e32 v5, v6
	ds_write_b32 v20, v6
	ds_write_b32 v19, v7
.LBB5_138:                              ;   in Loop: Header=BB5_5 Depth=1
	s_or_b64 exec, exec, s[10:11]
	ds_read_b32 v6, v20 offset:128
	s_waitcnt lgkmcnt(1)
	ds_read_b32 v7, v19 offset:128
	s_waitcnt lgkmcnt(1)
	v_cmp_lt_f32_e64 s[12:13], v5, v6
	v_cmp_nlt_f32_e32 vcc, v5, v6
	s_and_saveexec_b64 s[54:55], vcc
	s_cbranch_execz .LBB5_140
; %bb.139:                              ;   in Loop: Header=BB5_5 Depth=1
	v_cmp_eq_f32_e32 vcc, v5, v6
	s_waitcnt lgkmcnt(0)
	v_cmp_gt_i32_e64 s[10:11], v2, v7
	s_and_b64 s[10:11], vcc, s[10:11]
	s_andn2_b64 s[12:13], s[12:13], exec
	s_and_b64 s[10:11], s[10:11], exec
	s_or_b64 s[12:13], s[12:13], s[10:11]
.LBB5_140:                              ;   in Loop: Header=BB5_5 Depth=1
	s_or_b64 exec, exec, s[54:55]
	s_and_saveexec_b64 s[10:11], s[12:13]
	s_cbranch_execz .LBB5_142
; %bb.141:                              ;   in Loop: Header=BB5_5 Depth=1
	s_waitcnt lgkmcnt(0)
	v_mov_b32_e32 v2, v7
	v_mov_b32_e32 v5, v6
	ds_write_b32 v20, v6
	ds_write_b32 v19, v7
.LBB5_142:                              ;   in Loop: Header=BB5_5 Depth=1
	s_or_b64 exec, exec, s[10:11]
	ds_read_b32 v6, v20 offset:64
	s_waitcnt lgkmcnt(1)
	;; [unrolled: 28-line block ×6, first 2 shown]
	ds_read_b32 v7, v19 offset:4
	s_waitcnt lgkmcnt(1)
	v_cmp_eq_f32_e64 s[10:11], v5, v6
	s_waitcnt lgkmcnt(0)
	v_cmp_gt_i32_e64 s[12:13], v2, v7
	v_cmp_lt_f32_e32 vcc, v5, v6
	s_and_b64 s[10:11], s[10:11], s[12:13]
	s_or_b64 s[10:11], vcc, s[10:11]
	s_and_b64 exec, exec, s[10:11]
	s_cbranch_execz .LBB5_160
; %bb.159:                              ;   in Loop: Header=BB5_5 Depth=1
	ds_write_b32 v20, v6
	ds_write_b32 v19, v7
.LBB5_160:                              ;   in Loop: Header=BB5_5 Depth=1
	s_or_b64 exec, exec, s[52:53]
.LBB5_161:                              ;   in Loop: Header=BB5_5 Depth=1
	s_and_saveexec_b64 s[10:11], s[0:1]
	s_cbranch_execz .LBB5_163
; %bb.162:                              ;   in Loop: Header=BB5_5 Depth=1
	ds_read_b32 v2, v3 offset:2064
	ds_read_b32 v5, v3 offset:1024
	s_waitcnt lgkmcnt(0)
	v_cmp_lt_f32_e32 vcc, v2, v5
	v_cndmask_b32_e32 v2, v2, v5, vcc
	ds_write_b32 v3, v2 offset:2064
.LBB5_163:                              ;   in Loop: Header=BB5_5 Depth=1
	s_or_b64 exec, exec, s[10:11]
.LBB5_164:                              ;   in Loop: Header=BB5_5 Depth=1
	s_waitcnt lgkmcnt(0)
	s_barrier
	ds_read_b64 v[6:7], v3 offset:2056
	ds_read_b32 v2, v3 offset:2064
	s_waitcnt lgkmcnt(1)
	v_mul_f32_e32 v9, 0x3f23f07b, v7
	s_waitcnt lgkmcnt(0)
	v_div_scale_f32 v5, s[10:11], v2, v2, v7
	v_rcp_f32_e32 v8, v5
	v_fma_f32 v10, -v5, v8, 1.0
	v_fmac_f32_e32 v8, v10, v8
	v_div_scale_f32 v10, vcc, v7, v2, v7
	v_mul_f32_e32 v11, v10, v8
	v_fma_f32 v12, -v5, v11, v10
	v_fmac_f32_e32 v11, v12, v8
	v_fma_f32 v5, -v5, v11, v10
	v_div_fmas_f32 v5, v5, v8, v11
	v_div_fixup_f32 v5, v5, v2, v7
	v_mul_f32_e32 v5, v9, v5
	v_cmp_ge_f32_e32 vcc, v6, v5
	s_cbranch_vccnz .LBB5_170
; %bb.165:                              ;   in Loop: Header=BB5_5 Depth=1
	ds_read_b32 v5, v3 offset:2048
	v_mul_f32_e32 v2, 0x3f23f07b, v2
	s_waitcnt lgkmcnt(0)
	v_readfirstlane_b32 s10, v5
	s_add_i32 s10, s10, s50
	s_ashr_i32 s11, s10, 31
	s_lshl_b64 s[10:11], s[10:11], 3
	s_add_u32 s10, s59, s10
	s_addc_u32 s11, s60, s11
	global_load_dwordx2 v[6:7], v3, s[10:11]
	v_readfirstlane_b32 s49, v5
	s_waitcnt vmcnt(0)
	v_cmp_gt_f32_e32 vcc, 0, v7
	v_cndmask_b32_e64 v5, v7, -v7, vcc
	v_cmp_gt_f32_e32 vcc, 0, v6
	v_cndmask_b32_e64 v6, v6, -v6, vcc
	v_add_f32_e32 v5, v6, v5
	v_cmp_nge_f32_e32 vcc, v5, v2
	s_cbranch_vccnz .LBB5_193
; %bb.166:                              ;   in Loop: Header=BB5_5 Depth=1
	s_and_saveexec_b64 s[10:11], s[8:9]
	s_cbranch_execz .LBB5_169
; %bb.167:                              ;   in Loop: Header=BB5_5 Depth=1
	v_add_u32_e32 v6, s48, v0
	v_ashrrev_i32_e32 v7, 31, v6
	v_lshlrev_b64 v[6:7], 3, v[6:7]
	v_add_u32_e32 v8, s50, v0
	v_mov_b32_e32 v2, s74
	v_add_co_u32_e32 v6, vcc, s73, v6
	v_ashrrev_i32_e32 v9, 31, v8
	v_addc_co_u32_e32 v7, vcc, v2, v7, vcc
	v_lshlrev_b64 v[8:9], 3, v[8:9]
	v_add_co_u32_e32 v8, vcc, s73, v8
	v_addc_co_u32_e32 v9, vcc, v2, v9, vcc
	s_mov_b64 s[8:9], 0
	v_mov_b32_e32 v2, v0
.LBB5_168:                              ;   Parent Loop BB5_5 Depth=1
                                        ; =>  This Inner Loop Header: Depth=2
	global_load_dwordx2 v[10:11], v[8:9], off
	v_add_u32_e32 v2, 0x100, v2
	v_cmp_lt_i32_e32 vcc, s36, v2
	s_or_b64 s[8:9], vcc, s[8:9]
	s_waitcnt vmcnt(0)
	global_store_dwordx2 v[6:7], v[10:11], off
	v_add_co_u32_e32 v6, vcc, 0x800, v6
	v_addc_co_u32_e32 v7, vcc, 0, v7, vcc
	v_add_co_u32_e32 v8, vcc, 0x800, v8
	v_addc_co_u32_e32 v9, vcc, 0, v9, vcc
	s_andn2_b64 exec, exec, s[8:9]
	s_cbranch_execnz .LBB5_168
.LBB5_169:                              ;   in Loop: Header=BB5_5 Depth=1
	s_or_b64 exec, exec, s[10:11]
	s_mov_b64 s[10:11], -1
	s_mov_b32 s8, -1
	s_barrier
	s_add_i32 s37, s8, s36
	s_add_i32 s45, s37, 1
	s_cmp_eq_u32 s49, s45
	s_cbranch_scc0 .LBB5_171
	s_branch .LBB5_186
.LBB5_170:                              ;   in Loop: Header=BB5_5 Depth=1
	s_mov_b64 s[10:11], -1
	s_mov_b32 s8, -1
	s_mov_b32 s49, s36
	s_add_i32 s37, s8, s36
	s_add_i32 s45, s37, 1
	s_cmp_eq_u32 s49, s45
	s_cbranch_scc1 .LBB5_186
.LBB5_171:                              ;   in Loop: Header=BB5_5 Depth=1
	s_and_saveexec_b64 s[8:9], s[0:1]
	s_cbranch_execz .LBB5_173
; %bb.172:                              ;   in Loop: Header=BB5_5 Depth=1
	s_mul_i32 s12, s45, s63
	s_ashr_i32 s13, s12, 31
	s_lshl_b64 s[12:13], s[12:13], 3
	s_add_u32 s12, s33, s12
	s_addc_u32 s13, s42, s13
	global_load_dwordx2 v[6:7], v3, s[12:13]
	s_mul_i32 s12, s49, s63
	s_ashr_i32 s13, s12, 31
	s_lshl_b64 s[12:13], s[12:13], 3
	s_add_u32 s12, s33, s12
	s_addc_u32 s13, s42, s13
	s_waitcnt vmcnt(0)
	global_store_dwordx2 v3, v[6:7], s[12:13]
.LBB5_173:                              ;   in Loop: Header=BB5_5 Depth=1
	s_or_b64 exec, exec, s[8:9]
	s_sub_i32 s53, s37, s49
	v_cmp_gt_i32_e32 vcc, s53, v0
	s_mul_i32 s52, s45, s21
	s_and_saveexec_b64 s[12:13], vcc
	s_cbranch_execz .LBB5_176
; %bb.174:                              ;   in Loop: Header=BB5_5 Depth=1
	v_add_u32_e32 v2, s49, v1
	s_add_i32 s54, s49, s52
	v_mul_lo_u32 v2, s21, v2
	v_add_u32_e32 v6, s49, v2
	s_add_i32 s54, s54, 1
	s_mov_b64 s[50:51], 0
	v_mov_b32_e32 v2, v0
.LBB5_175:                              ;   Parent Loop BB5_5 Depth=1
                                        ; =>  This Inner Loop Header: Depth=2
	v_add_u32_e32 v8, s54, v2
	v_ashrrev_i32_e32 v9, 31, v8
	v_lshlrev_b64 v[8:9], 3, v[8:9]
	v_mov_b32_e32 v5, s42
	v_add_co_u32_e32 v8, vcc, s33, v8
	v_addc_co_u32_e32 v9, vcc, v5, v9, vcc
	global_load_dwordx2 v[8:9], v[8:9], off
	v_ashrrev_i32_e32 v7, 31, v6
	v_add_u32_e32 v2, 0x100, v2
	v_lshlrev_b64 v[10:11], 3, v[6:7]
	v_cmp_le_i32_e32 vcc, s53, v2
	v_add_co_u32_e64 v10, s[8:9], s33, v10
	v_add_u32_e32 v6, s79, v6
	v_addc_co_u32_e64 v11, s[8:9], v5, v11, s[8:9]
	s_or_b64 s[50:51], vcc, s[50:51]
	s_waitcnt vmcnt(0)
	global_store_dwordx2 v[10:11], v[8:9], off
	s_andn2_b64 exec, exec, s[50:51]
	s_cbranch_execnz .LBB5_175
.LBB5_176:                              ;   in Loop: Header=BB5_5 Depth=1
	s_or_b64 exec, exec, s[12:13]
	v_cmp_gt_i32_e32 vcc, s49, v0
	s_and_saveexec_b64 s[8:9], vcc
	s_cbranch_execz .LBB5_179
; %bb.177:                              ;   in Loop: Header=BB5_5 Depth=1
	s_mul_i32 s12, s49, s21
	v_add_u32_e32 v6, s12, v0
	v_ashrrev_i32_e32 v7, 31, v6
	v_lshlrev_b64 v[6:7], 3, v[6:7]
	v_add_u32_e32 v8, s52, v0
	v_mov_b32_e32 v2, s76
	v_add_co_u32_e32 v6, vcc, s75, v6
	v_ashrrev_i32_e32 v9, 31, v8
	v_addc_co_u32_e32 v7, vcc, v2, v7, vcc
	v_lshlrev_b64 v[8:9], 3, v[8:9]
	v_add_co_u32_e32 v8, vcc, s75, v8
	v_addc_co_u32_e32 v9, vcc, v2, v9, vcc
	s_mov_b64 s[12:13], 0
	v_mov_b32_e32 v2, v0
.LBB5_178:                              ;   Parent Loop BB5_5 Depth=1
                                        ; =>  This Inner Loop Header: Depth=2
	global_load_dwordx2 v[10:11], v[8:9], off
	v_add_u32_e32 v2, 0x100, v2
	v_cmp_le_i32_e32 vcc, s49, v2
	s_or_b64 s[12:13], vcc, s[12:13]
	s_waitcnt vmcnt(0)
	global_store_dwordx2 v[6:7], v[10:11], off
	v_add_co_u32_e32 v6, vcc, 0x800, v6
	v_addc_co_u32_e32 v7, vcc, 0, v7, vcc
	v_add_co_u32_e32 v8, vcc, 0x800, v8
	v_addc_co_u32_e32 v9, vcc, 0, v9, vcc
	s_andn2_b64 exec, exec, s[12:13]
	s_cbranch_execnz .LBB5_178
.LBB5_179:                              ;   in Loop: Header=BB5_5 Depth=1
	s_or_b64 exec, exec, s[8:9]
	s_not_b32 s50, s36
	s_add_i32 s50, s50, s22
	v_cmp_gt_i32_e32 vcc, s50, v0
	s_barrier
	s_and_saveexec_b64 s[8:9], vcc
	s_cbranch_execz .LBB5_182
; %bb.180:                              ;   in Loop: Header=BB5_5 Depth=1
	v_add_u32_e32 v2, s36, v1
	s_ashr_i32 s51, s37, 31
	v_mul_lo_u32 v2, s21, v2
	s_mov_b64 s[12:13], 0
	v_mov_b32_e32 v5, v0
.LBB5_181:                              ;   Parent Loop BB5_5 Depth=1
                                        ; =>  This Inner Loop Header: Depth=2
	v_ashrrev_i32_e32 v7, 31, v2
	v_mov_b32_e32 v9, s51
	v_add_co_u32_e32 v8, vcc, s37, v2
	v_addc_co_u32_e32 v9, vcc, v7, v9, vcc
	v_add_u32_e32 v6, s49, v2
	v_lshlrev_b64 v[8:9], 3, v[8:9]
	v_mov_b32_e32 v10, s66
	v_ashrrev_i32_e32 v7, 31, v6
	v_add_co_u32_e32 v8, vcc, s65, v8
	v_lshlrev_b64 v[6:7], 3, v[6:7]
	v_addc_co_u32_e32 v9, vcc, v10, v9, vcc
	v_mov_b32_e32 v11, s42
	v_add_co_u32_e32 v6, vcc, s33, v6
	v_addc_co_u32_e32 v7, vcc, v11, v7, vcc
	global_load_dwordx2 v[10:11], v[6:7], off
	global_load_dwordx2 v[12:13], v[8:9], off
	v_add_u32_e32 v5, 0x100, v5
	v_cmp_le_i32_e32 vcc, s50, v5
	v_add_u32_e32 v2, s79, v2
	s_or_b64 s[12:13], vcc, s[12:13]
	s_waitcnt vmcnt(1)
	global_store_dwordx2 v[8:9], v[10:11], off
	s_waitcnt vmcnt(1)
	global_store_dwordx2 v[6:7], v[12:13], off
	s_andn2_b64 exec, exec, s[12:13]
	s_cbranch_execnz .LBB5_181
.LBB5_182:                              ;   in Loop: Header=BB5_5 Depth=1
	s_or_b64 exec, exec, s[8:9]
	s_sub_i32 s45, s22, s45
	v_cmp_gt_i32_e32 vcc, s45, v0
	s_and_saveexec_b64 s[8:9], vcc
	s_cbranch_execz .LBB5_185
; %bb.183:                              ;   in Loop: Header=BB5_5 Depth=1
	v_add_u32_e32 v2, s37, v29
	s_ashr_i32 s50, s37, 31
	v_mul_lo_u32 v2, s22, v2
	s_mov_b64 s[12:13], 0
	v_mov_b32_e32 v5, v0
.LBB5_184:                              ;   Parent Loop BB5_5 Depth=1
                                        ; =>  This Inner Loop Header: Depth=2
	v_ashrrev_i32_e32 v7, 31, v2
	v_mov_b32_e32 v9, s50
	v_add_co_u32_e32 v8, vcc, s37, v2
	v_addc_co_u32_e32 v9, vcc, v7, v9, vcc
	v_add_u32_e32 v6, s49, v2
	v_lshlrev_b64 v[8:9], 3, v[8:9]
	v_mov_b32_e32 v10, s68
	v_ashrrev_i32_e32 v7, 31, v6
	v_add_co_u32_e32 v8, vcc, s67, v8
	v_lshlrev_b64 v[6:7], 3, v[6:7]
	v_addc_co_u32_e32 v9, vcc, v10, v9, vcc
	v_mov_b32_e32 v11, s60
	v_add_co_u32_e32 v6, vcc, s59, v6
	v_addc_co_u32_e32 v7, vcc, v11, v7, vcc
	global_load_dwordx2 v[10:11], v[6:7], off
	global_load_dwordx2 v[12:13], v[8:9], off
	v_add_u32_e32 v5, 0x100, v5
	v_cmp_le_i32_e32 vcc, s45, v5
	v_add_u32_e32 v2, s80, v2
	s_or_b64 s[12:13], vcc, s[12:13]
	s_waitcnt vmcnt(1)
	global_store_dwordx2 v[8:9], v[10:11], off
	s_waitcnt vmcnt(1)
	global_store_dwordx2 v[6:7], v[12:13], off
	s_andn2_b64 exec, exec, s[12:13]
	s_cbranch_execnz .LBB5_184
.LBB5_185:                              ;   in Loop: Header=BB5_5 Depth=1
	s_or_b64 exec, exec, s[8:9]
	s_barrier
.LBB5_186:                              ;   in Loop: Header=BB5_5 Depth=1
	s_xor_b64 s[10:11], s[10:11], -1
	s_mov_b64 s[8:9], -1
	s_and_b64 vcc, exec, s[10:11]
                                        ; implicit-def: $sgpr12
	s_cbranch_vccnz .LBB5_190
; %bb.187:                              ;   in Loop: Header=BB5_5 Depth=1
	s_and_b64 vcc, exec, s[8:9]
	s_cbranch_vccnz .LBB5_211
.LBB5_188:                              ;   in Loop: Header=BB5_5 Depth=1
.LBB5_189:                              ;   in Loop: Header=BB5_5 Depth=1
	s_and_saveexec_b64 s[6:7], s[0:1]
	s_cbranch_execz .LBB5_4
	s_branch .LBB5_224
.LBB5_190:                              ;   in Loop: Header=BB5_5 Depth=1
	s_cmp_lt_i32 s36, 2
	s_cbranch_scc1 .LBB5_208
; %bb.191:                              ;   in Loop: Header=BB5_5 Depth=1
	s_ashr_i32 s9, s48, 31
	s_ashr_i32 s12, s36, 31
	s_add_u32 s8, s48, s36
	s_addc_u32 s9, s9, s12
	s_lshl_b64 s[8:9], s[8:9], 3
	s_add_u32 s8, s69, s8
	s_addc_u32 s9, s70, s9
	global_load_dwordx2 v[10:11], v3, s[8:9]
	s_add_i32 s8, s48, s36
	s_ashr_i32 s9, s8, 31
	s_lshl_b64 s[8:9], s[8:9], 3
	s_add_u32 s8, s59, s8
	s_addc_u32 s9, s60, s9
	global_load_dwordx2 v[6:7], v3, s[8:9]
	s_waitcnt vmcnt(1)
	v_cmp_gt_f32_e32 vcc, 0, v10
	v_cndmask_b32_e64 v2, v10, -v10, vcc
	v_cmp_gt_f32_e32 vcc, 0, v11
	v_cndmask_b32_e64 v5, v11, -v11, vcc
	v_cmp_ngt_f32_e64 s[8:9], v2, v5
	s_and_b64 vcc, exec, s[8:9]
	s_waitcnt vmcnt(0)
	v_mov_b32_e32 v8, v7
	v_mov_b32_e32 v9, v6
	s_cbranch_vccz .LBB5_194
; %bb.192:                              ;   in Loop: Header=BB5_5 Depth=1
	v_div_scale_f32 v2, s[10:11], v11, v11, v10
	v_rcp_f32_e32 v5, v2
	v_div_scale_f32 v6, vcc, v10, v11, v10
	v_fma_f32 v7, -v2, v5, 1.0
	v_fmac_f32_e32 v5, v7, v5
	v_mul_f32_e32 v7, v6, v5
	v_fma_f32 v12, -v2, v7, v6
	v_fmac_f32_e32 v7, v12, v5
	v_fma_f32 v2, -v2, v7, v6
	v_div_fmas_f32 v2, v2, v5, v7
	v_div_fixup_f32 v2, v2, v11, v10
	v_fma_f32 v5, v10, v2, v11
	v_div_scale_f32 v6, s[10:11], v5, v5, 1.0
	v_rcp_f32_e32 v7, v6
	v_fma_f32 v12, -v6, v7, 1.0
	v_fmac_f32_e32 v7, v12, v7
	v_div_scale_f32 v12, vcc, 1.0, v5, 1.0
	v_mul_f32_e32 v13, v12, v7
	v_fma_f32 v14, -v6, v13, v12
	v_fmac_f32_e32 v13, v14, v7
	v_fma_f32 v6, -v6, v13, v12
	v_div_fmas_f32 v6, v6, v7, v13
	v_pk_fma_f32 v[12:13], v[2:3], v[8:9], v[8:9] op_sel:[0,0,1] op_sel_hi:[0,1,0]
	v_pk_fma_f32 v[14:15], v[2:3], v[8:9], v[8:9] op_sel:[0,0,1] op_sel_hi:[0,1,0] neg_lo:[0,0,1] neg_hi:[0,0,1]
	v_div_fixup_f32 v6, v6, v5, 1.0
	v_mov_b32_e32 v15, v13
	v_pk_mul_f32 v[6:7], v[6:7], v[14:15] op_sel_hi:[0,1]
	s_cbranch_execz .LBB5_195
	s_branch .LBB5_196
.LBB5_193:                              ;   in Loop: Header=BB5_5 Depth=1
	s_mov_b64 s[10:11], 0
	s_mov_b32 s8, -2
	s_add_i32 s37, s8, s36
	s_add_i32 s45, s37, 1
	s_cmp_eq_u32 s49, s45
	s_cbranch_scc0 .LBB5_171
	s_branch .LBB5_186
.LBB5_194:                              ;   in Loop: Header=BB5_5 Depth=1
                                        ; implicit-def: $vgpr6_vgpr7
.LBB5_195:                              ;   in Loop: Header=BB5_5 Depth=1
	v_div_scale_f32 v2, s[10:11], v10, v10, v11
	v_rcp_f32_e32 v5, v2
	v_div_scale_f32 v6, vcc, v11, v10, v11
	v_fma_f32 v7, -v2, v5, 1.0
	v_fmac_f32_e32 v5, v7, v5
	v_mul_f32_e32 v7, v6, v5
	v_fma_f32 v12, -v2, v7, v6
	v_fmac_f32_e32 v7, v12, v5
	v_fma_f32 v2, -v2, v7, v6
	v_div_fmas_f32 v2, v2, v5, v7
	v_div_fixup_f32 v2, v2, v10, v11
	v_fma_f32 v5, v11, v2, v10
	v_div_scale_f32 v6, s[10:11], v5, v5, 1.0
	v_rcp_f32_e32 v7, v6
	v_fma_f32 v12, -v6, v7, 1.0
	v_fmac_f32_e32 v7, v12, v7
	v_div_scale_f32 v12, vcc, 1.0, v5, 1.0
	v_mul_f32_e32 v13, v12, v7
	v_fma_f32 v14, -v6, v13, v12
	v_fmac_f32_e32 v13, v14, v7
	v_fma_f32 v6, -v6, v13, v12
	v_div_fmas_f32 v6, v6, v7, v13
	v_pk_mul_f32 v[12:13], v[2:3], v[8:9] op_sel_hi:[0,1]
	v_pk_add_f32 v[14:15], v[12:13], v[8:9] op_sel:[1,0] op_sel_hi:[0,1]
	v_pk_add_f32 v[8:9], v[8:9], v[12:13] op_sel:[0,1] op_sel_hi:[1,0] neg_lo:[0,1] neg_hi:[0,1]
	v_div_fixup_f32 v6, v6, v5, 1.0
	v_mov_b32_e32 v9, v15
	v_pk_mul_f32 v[6:7], v[6:7], v[8:9] op_sel_hi:[0,1]
.LBB5_196:                              ;   in Loop: Header=BB5_5 Depth=1
	s_add_i32 s10, s85, -1
	s_mul_i32 s10, s10, s22
	s_ashr_i32 s11, s10, 31
	s_add_u32 s50, s10, s36
	s_addc_u32 s51, s11, s12
	s_lshl_b64 s[12:13], s[50:51], 3
	s_add_u32 s12, s69, s12
	s_addc_u32 s13, s70, s13
	global_load_dwordx2 v[8:9], v3, s[12:13]
	s_and_b64 vcc, exec, s[8:9]
	s_waitcnt vmcnt(0)
	v_mov_b32_e32 v12, v9
	v_mov_b32_e32 v13, v8
	s_cbranch_vccz .LBB5_198
; %bb.197:                              ;   in Loop: Header=BB5_5 Depth=1
	v_div_scale_f32 v2, s[8:9], v11, v11, v10
	v_rcp_f32_e32 v5, v2
	v_div_scale_f32 v8, vcc, v10, v11, v10
	v_fma_f32 v9, -v2, v5, 1.0
	v_fmac_f32_e32 v5, v9, v5
	v_mul_f32_e32 v9, v8, v5
	v_fma_f32 v14, -v2, v9, v8
	v_fmac_f32_e32 v9, v14, v5
	v_fma_f32 v2, -v2, v9, v8
	v_div_fmas_f32 v2, v2, v5, v9
	v_div_fixup_f32 v2, v2, v11, v10
	v_fma_f32 v5, v10, v2, v11
	v_div_scale_f32 v8, s[8:9], v5, v5, 1.0
	v_rcp_f32_e32 v9, v8
	v_fma_f32 v14, -v8, v9, 1.0
	v_fmac_f32_e32 v9, v14, v9
	v_div_scale_f32 v14, vcc, 1.0, v5, 1.0
	v_mul_f32_e32 v15, v14, v9
	v_fma_f32 v16, -v8, v15, v14
	v_fmac_f32_e32 v15, v16, v9
	v_fma_f32 v8, -v8, v15, v14
	v_div_fmas_f32 v8, v8, v9, v15
	v_pk_fma_f32 v[14:15], v[2:3], v[12:13], v[12:13] op_sel:[0,0,1] op_sel_hi:[1,1,0] neg_lo:[0,0,1] neg_hi:[0,0,1]
	v_pk_fma_f32 v[16:17], v[2:3], v[12:13], v[12:13] op_sel:[0,0,1] op_sel_hi:[0,1,0]
	v_div_fixup_f32 v8, v8, v5, 1.0
	v_mov_b32_e32 v15, v17
	v_pk_mul_f32 v[8:9], v[8:9], v[14:15] op_sel_hi:[0,1]
	s_cbranch_execz .LBB5_199
	s_branch .LBB5_200
.LBB5_198:                              ;   in Loop: Header=BB5_5 Depth=1
                                        ; implicit-def: $vgpr8_vgpr9
.LBB5_199:                              ;   in Loop: Header=BB5_5 Depth=1
	v_div_scale_f32 v2, s[8:9], v10, v10, v11
	v_rcp_f32_e32 v5, v2
	v_div_scale_f32 v8, vcc, v11, v10, v11
	v_fma_f32 v9, -v2, v5, 1.0
	v_fmac_f32_e32 v5, v9, v5
	v_mul_f32_e32 v9, v8, v5
	v_fma_f32 v14, -v2, v9, v8
	v_fmac_f32_e32 v9, v14, v5
	v_fma_f32 v2, -v2, v9, v8
	v_div_fmas_f32 v2, v2, v5, v9
	v_div_fixup_f32 v2, v2, v10, v11
	v_fma_f32 v5, v11, v2, v10
	v_div_scale_f32 v8, s[8:9], v5, v5, 1.0
	v_rcp_f32_e32 v9, v8
	v_fma_f32 v14, -v8, v9, 1.0
	v_fmac_f32_e32 v9, v14, v9
	v_div_scale_f32 v14, vcc, 1.0, v5, 1.0
	v_mul_f32_e32 v15, v14, v9
	v_fma_f32 v16, -v8, v15, v14
	v_fmac_f32_e32 v15, v16, v9
	v_fma_f32 v8, -v8, v15, v14
	v_div_fmas_f32 v8, v8, v9, v15
	v_pk_mul_f32 v[14:15], v[2:3], v[12:13] op_sel_hi:[0,1]
	v_pk_add_f32 v[16:17], v[12:13], v[14:15] op_sel:[0,1] op_sel_hi:[1,0] neg_lo:[0,1] neg_hi:[0,1]
	v_pk_add_f32 v[12:13], v[14:15], v[12:13] op_sel:[1,0] op_sel_hi:[0,1]
	v_div_fixup_f32 v8, v8, v5, 1.0
	v_mov_b32_e32 v17, v13
	v_pk_mul_f32 v[8:9], v[8:9], v[16:17] op_sel_hi:[0,1]
.LBB5_200:                              ;   in Loop: Header=BB5_5 Depth=1
	v_pk_mul_f32 v[12:13], v[6:7], v[8:9]
	v_mov_b32_e32 v5, v6
	v_mov_b32_e32 v2, v13
	v_pk_mul_f32 v[14:15], v[4:5], v[8:9]
	v_mov_b32_e32 v5, v8
	v_pk_fma_f32 v[12:13], v[6:7], v[8:9], v[2:3] neg_lo:[1,0,0] neg_hi:[1,0,0]
	v_pk_mul_f32 v[16:17], v[6:7], v[4:5]
	v_mov_b32_e32 v13, v17
	v_mov_b32_e32 v5, v15
	v_pk_add_f32 v[12:13], v[12:13], v[4:5]
	v_pk_mul_f32 v[14:15], v[10:11], v[12:13]
	v_sub_f32_e32 v2, v14, v15
	v_mul_f32_e32 v5, v10, v13
	v_fmac_f32_e32 v5, v11, v12
	v_cmp_gt_f32_e32 vcc, 0, v2
	v_cndmask_b32_e64 v10, v2, -v2, vcc
	v_cmp_gt_f32_e32 vcc, 0, v5
	v_cndmask_b32_e64 v11, v5, -v5, vcc
	v_cmp_ngt_f32_e32 vcc, v10, v11
	s_cbranch_vccz .LBB5_202
; %bb.201:                              ;   in Loop: Header=BB5_5 Depth=1
	v_div_scale_f32 v10, s[8:9], v5, v5, v2
	v_rcp_f32_e32 v11, v10
	v_div_scale_f32 v12, vcc, v2, v5, v2
	s_mov_b32 s45, s20
	v_fma_f32 v13, -v10, v11, 1.0
	v_fmac_f32_e32 v11, v13, v11
	v_mul_f32_e32 v13, v12, v11
	v_fma_f32 v14, -v10, v13, v12
	v_fmac_f32_e32 v13, v14, v11
	v_fma_f32 v10, -v10, v13, v12
	v_div_fmas_f32 v10, v10, v11, v13
	v_div_fixup_f32 v11, v10, v5, v2
	v_fma_f32 v10, v2, v11, v5
	v_div_scale_f32 v12, s[8:9], v10, v10, 1.0
	v_rcp_f32_e32 v13, v12
	v_fma_f32 v14, -v12, v13, 1.0
	v_fmac_f32_e32 v13, v14, v13
	v_div_scale_f32 v14, vcc, 1.0, v10, 1.0
	v_mul_f32_e32 v15, v14, v13
	v_fma_f32 v16, -v12, v15, v14
	v_fmac_f32_e32 v15, v16, v13
	v_fma_f32 v12, -v12, v15, v14
	v_div_fmas_f32 v12, v12, v13, v15
	v_div_fixup_f32 v12, v12, v10, 1.0
	v_mul_f32_e32 v10, 0, v11
	v_pk_add_f32 v[10:11], v[10:11], s[44:45]
	v_pk_mul_f32 v[10:11], v[10:11], v[12:13] op_sel_hi:[1,0]
	s_cbranch_execz .LBB5_203
	s_branch .LBB5_204
.LBB5_202:                              ;   in Loop: Header=BB5_5 Depth=1
                                        ; implicit-def: $vgpr10_vgpr11
.LBB5_203:                              ;   in Loop: Header=BB5_5 Depth=1
	v_div_scale_f32 v10, s[8:9], v2, v2, v5
	v_rcp_f32_e32 v11, v10
	v_div_scale_f32 v12, vcc, v5, v2, v5
	v_fma_f32 v13, -v10, v11, 1.0
	v_fmac_f32_e32 v11, v13, v11
	v_mul_f32_e32 v13, v12, v11
	v_fma_f32 v14, -v10, v13, v12
	v_fmac_f32_e32 v13, v14, v11
	v_fma_f32 v10, -v10, v13, v12
	v_div_fmas_f32 v10, v10, v11, v13
	v_div_fixup_f32 v10, v10, v2, v5
	v_fmac_f32_e32 v2, v5, v10
	v_div_scale_f32 v5, s[8:9], v2, v2, 1.0
	v_rcp_f32_e32 v11, v5
	v_fma_f32 v12, -v5, v11, 1.0
	v_fmac_f32_e32 v11, v12, v11
	v_div_scale_f32 v12, vcc, 1.0, v2, 1.0
	v_mul_f32_e32 v13, v12, v11
	v_fma_f32 v14, -v5, v13, v12
	v_fmac_f32_e32 v13, v14, v11
	v_fma_f32 v5, -v5, v13, v12
	v_div_fmas_f32 v5, v5, v11, v13
	v_mul_f32_e32 v11, 0, v10
	v_pk_add_f32 v[12:13], v[10:11], s[20:21] neg_lo:[1,0] neg_hi:[1,0]
	v_pk_add_f32 v[10:11], v[10:11], s[42:43]
	v_div_fixup_f32 v2, v5, v2, 1.0
	v_mov_b32_e32 v13, v11
	v_pk_mul_f32 v[10:11], v[12:13], v[2:3] op_sel_hi:[1,0]
.LBB5_204:                              ;   in Loop: Header=BB5_5 Depth=1
	s_add_i32 s12, s36, -2
	v_cmp_ge_i32_e32 vcc, s12, v0
	s_and_saveexec_b64 s[8:9], vcc
	s_cbranch_execz .LBB5_207
; %bb.205:                              ;   in Loop: Header=BB5_5 Depth=1
	s_add_i32 s11, s36, -1
	v_add_u32_e32 v12, s10, v0
	s_mul_i32 s11, s11, s21
	v_ashrrev_i32_e32 v13, 31, v12
	v_lshlrev_b64 v[12:13], 3, v[12:13]
	v_add_u32_e32 v14, s11, v0
	v_mov_b32_e32 v2, s78
	v_add_co_u32_e32 v12, vcc, s77, v12
	v_ashrrev_i32_e32 v15, 31, v14
	v_addc_co_u32_e32 v13, vcc, v2, v13, vcc
	v_lshlrev_b64 v[14:15], 3, v[14:15]
	v_add_u32_e32 v16, s48, v0
	v_mov_b32_e32 v2, s82
	v_add_co_u32_e32 v14, vcc, s81, v14
	v_ashrrev_i32_e32 v17, 31, v16
	v_addc_co_u32_e32 v15, vcc, v2, v15, vcc
	v_lshlrev_b64 v[16:17], 3, v[16:17]
	v_mov_b32_e32 v2, s78
	v_add_co_u32_e32 v16, vcc, s77, v16
	s_mul_i32 s13, s36, s21
	v_addc_co_u32_e32 v17, vcc, v2, v17, vcc
	s_mov_b64 s[10:11], 0
	v_mov_b32_e32 v2, v0
.LBB5_206:                              ;   Parent Loop BB5_5 Depth=1
                                        ; =>  This Inner Loop Header: Depth=2
	global_load_dwordx2 v[32:33], v[12:13], off offset:-4
	global_load_dwordx2 v[34:35], v[16:17], off offset:-4
	v_add_u32_e32 v36, s13, v2
	v_add_u32_e32 v2, 0x100, v2
	v_ashrrev_i32_e32 v37, 31, v36
	v_cmp_lt_i32_e32 vcc, s12, v2
	v_lshlrev_b64 v[36:37], 3, v[36:37]
	s_or_b64 s[10:11], vcc, s[10:11]
	v_add_co_u32_e32 v36, vcc, s33, v36
	s_waitcnt vmcnt(1)
	v_mul_f32_e32 v5, v6, v33
	v_mul_f32_e32 v31, v7, v33
	v_fma_f32 v5, v7, v32, -v5
	v_fmac_f32_e32 v31, v6, v32
	s_waitcnt vmcnt(0)
	v_sub_f32_e32 v5, v5, v34
	v_sub_f32_e32 v31, v31, v35
	v_mul_f32_e32 v32, v10, v31
	v_mul_f32_e32 v33, v10, v5
	v_fma_f32 v32, v11, v5, -v32
	v_fmac_f32_e32 v33, v11, v31
	global_store_dwordx2 v[14:15], v[32:33], off offset:-4
	global_load_dwordx2 v[32:33], v[16:17], off offset:-4
	s_nop 0
	global_load_dwordx2 v[34:35], v[12:13], off offset:-4
	v_mov_b32_e32 v5, s42
	v_addc_co_u32_e32 v37, vcc, v5, v37, vcc
	v_add_co_u32_e32 v12, vcc, s84, v12
	v_addc_co_u32_e32 v13, vcc, 0, v13, vcc
	v_add_co_u32_e32 v14, vcc, 0x800, v14
	;; [unrolled: 2-line block ×3, first 2 shown]
	v_addc_co_u32_e32 v17, vcc, 0, v17, vcc
	s_waitcnt vmcnt(1)
	v_mul_f32_e32 v5, v8, v33
	v_mul_f32_e32 v31, v9, v33
	v_fma_f32 v5, v9, v32, -v5
	v_fmac_f32_e32 v31, v8, v32
	s_waitcnt vmcnt(0)
	v_sub_f32_e32 v5, v5, v34
	v_sub_f32_e32 v31, v31, v35
	v_mul_f32_e32 v32, v10, v31
	v_mul_f32_e32 v33, v10, v5
	v_fma_f32 v32, v11, v5, -v32
	v_fmac_f32_e32 v33, v11, v31
	global_store_dwordx2 v[36:37], v[32:33], off
	s_andn2_b64 exec, exec, s[10:11]
	s_cbranch_execnz .LBB5_206
.LBB5_207:                              ;   in Loop: Header=BB5_5 Depth=1
	s_or_b64 exec, exec, s[8:9]
.LBB5_208:                              ;   in Loop: Header=BB5_5 Depth=1
	s_and_saveexec_b64 s[8:9], s[0:1]
	s_cbranch_execz .LBB5_210
; %bb.209:                              ;   in Loop: Header=BB5_5 Depth=1
	s_add_i32 s10, s85, -1
	s_mul_i32 s10, s10, s22
	s_add_i32 s12, s36, -1
	s_ashr_i32 s11, s10, 31
	s_ashr_i32 s37, s36, 31
	s_add_u32 s10, s10, s36
	s_addc_u32 s11, s11, s37
	s_lshl_b64 s[10:11], s[10:11], 3
	s_add_u32 s10, s69, s10
	s_addc_u32 s11, s70, s11
	global_load_dwordx2 v[6:7], v3, s[10:11]
	s_mul_i32 s10, s12, s63
	s_ashr_i32 s11, s10, 31
	s_lshl_b64 s[10:11], s[10:11], 3
	s_add_u32 s10, s33, s10
	s_addc_u32 s11, s42, s11
	s_ashr_i32 s13, s48, 31
	s_add_u32 s12, s48, s36
	s_addc_u32 s13, s13, s37
	s_lshl_b64 s[12:13], s[12:13], 3
	s_add_u32 s12, s69, s12
	s_addc_u32 s13, s70, s13
	s_mul_i32 s45, s36, s21
	s_waitcnt vmcnt(0)
	global_store_dwordx2 v3, v[6:7], s[10:11]
	global_load_dwordx2 v[6:7], v3, s[12:13]
	s_ashr_i32 s11, s45, 31
	s_add_u32 s10, s36, s45
	s_addc_u32 s11, s37, s11
	s_lshl_b64 s[10:11], s[10:11], 3
	s_add_u32 s10, s71, s10
	s_addc_u32 s11, s72, s11
	s_add_i32 s12, s48, s36
	s_ashr_i32 s13, s12, 31
	s_lshl_b64 s[12:13], s[12:13], 3
	s_add_u32 s12, s59, s12
	s_addc_u32 s13, s60, s13
	s_waitcnt vmcnt(0)
	global_store_dwordx2 v3, v[6:7], s[10:11]
	global_load_dwordx2 v[6:7], v3, s[12:13]
	s_add_i32 s10, s45, s36
	s_ashr_i32 s11, s10, 31
	s_lshl_b64 s[10:11], s[10:11], 3
	s_add_u32 s10, s33, s10
	s_addc_u32 s11, s42, s11
	s_waitcnt vmcnt(0)
	global_store_dwordx2 v3, v[6:7], s[10:11]
.LBB5_210:                              ;   in Loop: Header=BB5_5 Depth=1
	s_or_b64 exec, exec, s[8:9]
	s_mov_b64 s[8:9], 0
	s_mov_b32 s12, -2
	s_barrier
	s_branch .LBB5_188
.LBB5_211:                              ;   in Loop: Header=BB5_5 Depth=1
	s_add_i32 s8, s48, s36
	s_ashr_i32 s9, s8, 31
	s_lshl_b64 s[8:9], s[8:9], 3
	s_add_u32 s8, s59, s8
	s_addc_u32 s9, s60, s9
	global_load_dwordx2 v[6:7], v3, s[8:9]
	s_waitcnt vmcnt(0)
	v_cmp_gt_f32_e32 vcc, 0, v7
	v_cndmask_b32_e64 v2, v7, -v7, vcc
	v_cmp_gt_f32_e32 vcc, 0, v6
	v_cndmask_b32_e64 v5, v6, -v6, vcc
	v_cmp_ngt_f32_e32 vcc, v5, v2
	s_cbranch_vccz .LBB5_213
; %bb.212:                              ;   in Loop: Header=BB5_5 Depth=1
	v_div_scale_f32 v2, s[8:9], v7, v7, v6
	v_rcp_f32_e32 v5, v2
	v_div_scale_f32 v8, vcc, v6, v7, v6
	s_mov_b32 s45, s20
	v_fma_f32 v9, -v2, v5, 1.0
	v_fmac_f32_e32 v5, v9, v5
	v_mul_f32_e32 v9, v8, v5
	v_fma_f32 v10, -v2, v9, v8
	v_fmac_f32_e32 v9, v10, v5
	v_fma_f32 v2, -v2, v9, v8
	v_div_fmas_f32 v2, v2, v5, v9
	v_div_fixup_f32 v9, v2, v7, v6
	v_fma_f32 v2, v6, v9, v7
	v_div_scale_f32 v5, s[8:9], v2, v2, 1.0
	v_rcp_f32_e32 v8, v5
	v_fma_f32 v10, -v5, v8, 1.0
	v_fmac_f32_e32 v8, v10, v8
	v_div_scale_f32 v10, vcc, 1.0, v2, 1.0
	v_mul_f32_e32 v11, v10, v8
	v_fma_f32 v12, -v5, v11, v10
	v_fmac_f32_e32 v11, v12, v8
	v_fma_f32 v5, -v5, v11, v10
	v_div_fmas_f32 v5, v5, v8, v11
	v_mul_f32_e32 v8, 0, v9
	v_div_fixup_f32 v2, v5, v2, 1.0
	v_pk_add_f32 v[8:9], v[8:9], s[44:45]
	v_pk_mul_f32 v[8:9], v[8:9], v[2:3] op_sel_hi:[1,0]
	s_cbranch_execz .LBB5_214
	s_branch .LBB5_215
.LBB5_213:                              ;   in Loop: Header=BB5_5 Depth=1
                                        ; implicit-def: $vgpr8_vgpr9
.LBB5_214:                              ;   in Loop: Header=BB5_5 Depth=1
	v_div_scale_f32 v2, s[8:9], v6, v6, v7
	v_rcp_f32_e32 v5, v2
	v_div_scale_f32 v8, vcc, v7, v6, v7
	v_fma_f32 v9, -v2, v5, 1.0
	v_fmac_f32_e32 v5, v9, v5
	v_mul_f32_e32 v9, v8, v5
	v_fma_f32 v10, -v2, v9, v8
	v_fmac_f32_e32 v9, v10, v5
	v_fma_f32 v2, -v2, v9, v8
	v_div_fmas_f32 v2, v2, v5, v9
	v_div_fixup_f32 v8, v2, v6, v7
	v_fma_f32 v2, v7, v8, v6
	v_div_scale_f32 v5, s[8:9], v2, v2, 1.0
	v_rcp_f32_e32 v9, v5
	v_fma_f32 v10, -v5, v9, 1.0
	v_fmac_f32_e32 v9, v10, v9
	v_div_scale_f32 v10, vcc, 1.0, v2, 1.0
	v_mul_f32_e32 v11, v10, v9
	v_fma_f32 v12, -v5, v11, v10
	v_fmac_f32_e32 v11, v12, v9
	v_fma_f32 v5, -v5, v11, v10
	v_div_fmas_f32 v5, v5, v9, v11
	v_mul_f32_e32 v9, 0, v8
	v_pk_add_f32 v[10:11], v[8:9], s[20:21] neg_lo:[1,0] neg_hi:[1,0]
	v_pk_add_f32 v[8:9], v[8:9], s[42:43]
	v_div_fixup_f32 v2, v5, v2, 1.0
	v_mov_b32_e32 v11, v9
	v_pk_mul_f32 v[8:9], v[10:11], v[2:3] op_sel_hi:[1,0]
.LBB5_215:                              ;   in Loop: Header=BB5_5 Depth=1
	s_and_saveexec_b64 s[8:9], s[0:1]
	s_cbranch_execnz .LBB5_217
; %bb.216:                              ;   in Loop: Header=BB5_5 Depth=1
	s_or_b64 exec, exec, s[8:9]
	s_and_saveexec_b64 s[8:9], s[6:7]
	s_cbranch_execnz .LBB5_218
	s_branch .LBB5_220
.LBB5_217:                              ;   in Loop: Header=BB5_5 Depth=1
	s_mul_i32 s10, s36, s63
	s_ashr_i32 s11, s10, 31
	s_lshl_b64 s[10:11], s[10:11], 3
	s_add_u32 s10, s33, s10
	s_addc_u32 s11, s42, s11
	global_store_dwordx2 v3, v[6:7], s[10:11]
	s_or_b64 exec, exec, s[8:9]
	s_and_saveexec_b64 s[8:9], s[6:7]
	s_cbranch_execz .LBB5_220
.LBB5_218:                              ;   in Loop: Header=BB5_5 Depth=1
	v_add_u32_e32 v6, s48, v0
	s_mul_i32 s6, s36, s21
	v_ashrrev_i32_e32 v7, 31, v6
	v_lshlrev_b64 v[6:7], 3, v[6:7]
	v_add_u32_e32 v10, s6, v0
	v_mov_b32_e32 v2, s78
	v_add_co_u32_e32 v6, vcc, s77, v6
	v_ashrrev_i32_e32 v11, 31, v10
	v_addc_co_u32_e32 v7, vcc, v2, v7, vcc
	v_lshlrev_b64 v[10:11], 3, v[10:11]
	v_mov_b32_e32 v2, s82
	v_add_co_u32_e32 v10, vcc, s81, v10
	v_addc_co_u32_e32 v11, vcc, v2, v11, vcc
	s_mov_b64 s[6:7], 0
	v_mov_b32_e32 v2, v0
.LBB5_219:                              ;   Parent Loop BB5_5 Depth=1
                                        ; =>  This Inner Loop Header: Depth=2
	global_load_dwordx2 v[12:13], v[6:7], off offset:-4
	v_add_co_u32_e32 v6, vcc, 0x800, v6
	v_add_u32_e32 v2, 0x100, v2
	v_addc_co_u32_e32 v7, vcc, 0, v7, vcc
	v_cmp_le_i32_e32 vcc, s36, v2
	s_or_b64 s[6:7], vcc, s[6:7]
	s_waitcnt vmcnt(0)
	v_mul_f32_e32 v5, v8, v13
	v_mul_f32_e32 v15, v9, v13
	v_fma_f32 v14, v9, v12, -v5
	v_fmac_f32_e32 v15, v8, v12
	global_store_dwordx2 v[10:11], v[14:15], off offset:-4
	v_add_co_u32_e32 v10, vcc, 0x800, v10
	v_addc_co_u32_e32 v11, vcc, 0, v11, vcc
	s_andn2_b64 exec, exec, s[6:7]
	s_cbranch_execnz .LBB5_219
.LBB5_220:                              ;   in Loop: Header=BB5_5 Depth=1
	s_or_b64 exec, exec, s[8:9]
	s_mov_b64 s[8:9], -1
	s_mov_b32 s12, -1
	s_barrier
	s_branch .LBB5_189
.LBB5_221:                              ;   in Loop: Header=BB5_5 Depth=1
	ds_read_b32 v2, v3 offset:2052
	s_waitcnt lgkmcnt(0)
	v_readfirstlane_b32 s6, v2
	s_cmp_eq_u32 s6, 0
	s_cselect_b64 s[6:7], -1, 0
	s_and_b64 s[8:9], s[0:1], s[6:7]
	s_and_saveexec_b64 s[6:7], s[8:9]
	s_cbranch_execz .LBB5_223
; %bb.222:                              ;   in Loop: Header=BB5_5 Depth=1
	s_add_i32 s8, s36, 1
	v_mov_b32_e32 v2, s8
	ds_write_b32 v3, v2 offset:2052
.LBB5_223:                              ;   in Loop: Header=BB5_5 Depth=1
	s_or_b64 exec, exec, s[6:7]
	s_mov_b32 s12, -1
	s_mov_b64 s[8:9], -1
	s_mov_b32 s49, s36
	s_and_saveexec_b64 s[6:7], s[0:1]
	s_cbranch_execz .LBB5_4
.LBB5_224:                              ;   in Loop: Header=BB5_5 Depth=1
	s_mov_b32 s37, s20
	s_xor_b64 s[50:51], s[8:9], -1
	s_lshl_b64 s[8:9], s[36:37], 2
	s_add_u32 s8, s56, s8
	s_addc_u32 s9, s57, s9
	s_mov_b64 s[10:11], -1
	s_and_b64 vcc, exec, s[50:51]
	s_cbranch_vccz .LBB5_226
; %bb.225:                              ;   in Loop: Header=BB5_5 Depth=1
	s_not_b32 s10, s49
	v_mov_b32_e32 v6, s10
	v_mov_b32_e32 v7, s10
	global_store_dwordx2 v3, v[6:7], s[8:9] offset:-4
	s_mov_b64 s[10:11], 0
.LBB5_226:                              ;   in Loop: Header=BB5_5 Depth=1
	s_andn2_b64 vcc, exec, s[10:11]
	s_cbranch_vccnz .LBB5_4
; %bb.227:                              ;   in Loop: Header=BB5_5 Depth=1
	s_add_i32 s10, s49, 1
	v_mov_b32_e32 v2, s10
	global_store_dword v3, v2, s[8:9]
	s_branch .LBB5_4
.LBB5_228:
	s_add_i32 s6, s85, 1
.LBB5_229:
	s_and_saveexec_b64 s[2:3], s[0:1]
	s_cbranch_execz .LBB5_231
; %bb.230:
	s_lshl_b64 s[0:1], s[34:35], 2
	s_add_u32 s4, s16, s0
	s_addc_u32 s5, s17, s1
	v_mov_b32_e32 v2, 0
	s_add_u32 s0, s14, s0
	ds_read_b32 v3, v2 offset:2052
	s_addc_u32 s1, s15, s1
	s_not_b32 s7, s36
	s_add_i32 s7, s7, s22
	v_mov_b32_e32 v4, s7
	global_store_dword v2, v4, s[4:5]
	s_waitcnt lgkmcnt(0)
	global_store_dword v2, v3, s[0:1]
.LBB5_231:
	s_or_b64 exec, exec, s[2:3]
	s_abs_i32 s0, s23
	v_cvt_f32_u32_e32 v2, s0
	s_sub_i32 s3, 0, s0
	s_abs_i32 s2, s36
	s_ashr_i32 s1, s36, 31
	v_rcp_iflag_f32_e32 v2, v2
	s_mov_b32 s5, 0
	v_mul_f32_e32 v2, 0x4f7ffffe, v2
	v_cvt_u32_f32_e32 v2, v2
	v_readfirstlane_b32 s4, v2
	s_mul_i32 s3, s3, s4
	s_mul_hi_u32 s3, s4, s3
	s_add_i32 s4, s4, s3
	s_mul_hi_u32 s3, s2, s4
	s_mul_i32 s3, s3, s0
	s_sub_i32 s2, s2, s3
	s_sub_i32 s3, s2, s0
	s_cmp_ge_u32 s2, s0
	s_cselect_b32 s2, s3, s2
	s_sub_i32 s3, s2, s0
	s_cmp_ge_u32 s2, s0
	s_cselect_b32 s0, s3, s2
	s_xor_b32 s0, s0, s1
	s_sub_i32 s0, s1, s0
	s_add_i32 s4, s36, s0
	s_add_i32 s2, s36, 1
	s_cmp_lt_i32 s4, 0
	s_cbranch_scc1 .LBB5_249
; %bb.232:
	s_mul_i32 s6, s6, s22
	s_not_b32 s3, s36
	s_mul_i32 s0, s2, s21
	s_ashr_i32 s7, s6, 31
	s_add_i32 s3, s3, s22
	s_ashr_i32 s1, s0, 31
	s_lshl_b64 s[8:9], s[6:7], 3
	s_add_u32 s20, s59, s8
	s_addc_u32 s34, s60, s9
	s_cmp_gt_i32 s3, 0
	s_cselect_b64 s[6:7], -1, 0
	s_lshl_b64 s[0:1], s[0:1], 3
	s_add_u32 s35, s33, s0
	s_addc_u32 s36, s42, s1
	s_add_u32 s8, s30, s8
	s_addc_u32 s9, s31, s9
	;; [unrolled: 2-line block ×4, first 2 shown]
	s_ashr_i32 s9, s22, 31
	s_mov_b32 s8, s22
	s_lshl_b64 s[8:9], s[8:9], 3
	s_add_u32 s10, s26, s28
	s_addc_u32 s11, s27, s29
	s_add_u32 s0, s10, s0
	s_addc_u32 s1, s11, s1
	;; [unrolled: 2-line block ×3, first 2 shown]
	v_mov_b32_e32 v2, s1
	v_add_co_u32_e32 v12, vcc, s0, v18
	s_ashr_i32 s1, s21, 31
	s_mov_b32 s0, s21
	s_lshl_b64 s[10:11], s[0:1], 3
	v_mov_b32_e32 v3, 0
	v_addc_co_u32_e32 v13, vcc, 0, v2, vcc
	v_mov_b32_e32 v14, s11
	s_branch .LBB5_234
.LBB5_233:                              ;   in Loop: Header=BB5_234 Depth=1
	s_or_b64 exec, exec, s[0:1]
	s_sub_i32 s4, s4, s23
	s_cmp_gt_i32 s4, -1
	s_cbranch_scc0 .LBB5_249
.LBB5_234:                              ; =>This Loop Header: Depth=1
                                        ;     Child Loop BB5_237 Depth 2
                                        ;       Child Loop BB5_240 Depth 3
                                        ;         Child Loop BB5_242 Depth 4
                                        ;     Child Loop BB5_246 Depth 2
                                        ;       Child Loop BB5_248 Depth 3
	s_sub_i32 s0, s2, s4
	s_min_i32 s11, s0, s23
	s_cmp_lt_i32 s11, 1
	s_cbranch_scc1 .LBB5_243
; %bb.235:                              ;   in Loop: Header=BB5_234 Depth=1
	s_lshl_b64 s[0:1], s[4:5], 3
	s_add_u32 s12, s24, s0
	s_addc_u32 s13, s25, s1
	s_add_i32 s18, s11, s4
	v_mov_b32_e32 v2, s1
	v_add_co_u32_e32 v4, vcc, s0, v12
	s_add_u32 s19, s33, s0
	v_addc_co_u32_e32 v5, vcc, v13, v2, vcc
	s_addc_u32 s26, s42, s1
	s_mov_b32 s27, s4
	s_branch .LBB5_237
.LBB5_236:                              ;   in Loop: Header=BB5_237 Depth=2
	s_or_b64 exec, exec, s[14:15]
	s_add_i32 s27, s27, 1
	s_add_u32 s12, s12, 8
	s_addc_u32 s13, s13, 0
	s_cmp_lt_i32 s27, s18
	s_cbranch_scc0 .LBB5_243
.LBB5_237:                              ;   Parent Loop BB5_234 Depth=1
                                        ; =>  This Loop Header: Depth=2
                                        ;       Child Loop BB5_240 Depth 3
                                        ;         Child Loop BB5_242 Depth 4
	s_sub_i32 s28, s27, s4
	v_cmp_ge_i32_e32 vcc, s28, v0
	s_and_saveexec_b64 s[14:15], vcc
	s_cbranch_execz .LBB5_236
; %bb.238:                              ;   in Loop: Header=BB5_237 Depth=2
	s_mul_i32 s0, s27, s21
	s_ashr_i32 s1, s0, 31
	s_lshl_b64 s[0:1], s[0:1], 3
	s_add_u32 s29, s19, s0
	s_addc_u32 s0, s26, s1
	s_mov_b64 s[16:17], 0
	v_mov_b32_e32 v15, s0
	v_pk_mov_b32 v[6:7], v[4:5], v[4:5] op_sel:[0,1]
	v_mov_b32_e32 v2, v0
	s_branch .LBB5_240
.LBB5_239:                              ;   in Loop: Header=BB5_240 Depth=3
	v_lshlrev_b64 v[10:11], 3, v[2:3]
	v_add_co_u32_e32 v10, vcc, s29, v10
	v_addc_co_u32_e32 v11, vcc, v15, v11, vcc
	global_load_dwordx2 v[16:17], v[10:11], off
	v_xor_b32_e32 v18, 0x80000000, v8
	v_mov_b32_e32 v22, v9
	v_mul_f32_e32 v21, 0, v8
	v_add_u32_e32 v2, 0x100, v2
	v_add_co_u32_e32 v6, vcc, 0x800, v6
	v_cmp_lt_i32_e64 s[0:1], s28, v2
	s_or_b64 s[16:17], s[0:1], s[16:17]
	v_addc_co_u32_e32 v7, vcc, 0, v7, vcc
	s_waitcnt vmcnt(0)
	v_mov_b32_e32 v23, v16
	v_mov_b32_e32 v19, v17
	v_mul_f32_e32 v8, 0, v17
	v_mov_b32_e32 v20, v16
	v_pk_fma_f32 v[16:17], v[22:23], 0, v[18:19] op_sel_hi:[1,0,1] neg_lo:[1,0,0] neg_hi:[1,0,0]
	v_pk_fma_f32 v[18:19], v[22:23], 0, v[18:19] op_sel_hi:[1,0,1]
	v_pk_add_f32 v[8:9], v[20:21], v[8:9] neg_lo:[0,1] neg_hi:[0,1]
	v_mov_b32_e32 v17, v19
	v_pk_add_f32 v[8:9], v[16:17], v[8:9]
	global_store_dwordx2 v[10:11], v[8:9], off
	s_andn2_b64 exec, exec, s[16:17]
	s_cbranch_execz .LBB5_236
.LBB5_240:                              ;   Parent Loop BB5_234 Depth=1
                                        ;     Parent Loop BB5_237 Depth=2
                                        ; =>    This Loop Header: Depth=3
                                        ;         Child Loop BB5_242 Depth 4
	s_andn2_b64 vcc, exec, s[6:7]
	v_mov_b32_e32 v9, 0
	v_mov_b32_e32 v8, 0
	s_cbranch_vccnz .LBB5_239
; %bb.241:                              ;   in Loop: Header=BB5_240 Depth=3
	v_mov_b32_e32 v9, 0
	v_pk_mov_b32 v[10:11], v[6:7], v[6:7] op_sel:[0,1]
	s_mov_b64 s[0:1], s[12:13]
	s_mov_b32 s30, s3
	v_mov_b32_e32 v8, 0
.LBB5_242:                              ;   Parent Loop BB5_234 Depth=1
                                        ;     Parent Loop BB5_237 Depth=2
                                        ;       Parent Loop BB5_240 Depth=3
                                        ; =>      This Inner Loop Header: Depth=4
	global_load_dwordx2 v[16:17], v[10:11], off
	global_load_dwordx2 v[18:19], v3, s[0:1] offset:-4
	s_add_i32 s30, s30, -1
	s_add_u32 s0, s0, s8
	v_add_co_u32_e32 v10, vcc, s10, v10
	s_addc_u32 s1, s1, s9
	v_addc_co_u32_e32 v11, vcc, v11, v14, vcc
	s_cmp_eq_u32 s30, 0
	s_waitcnt vmcnt(0)
	v_mul_f32_e32 v20, v19, v17
	v_mul_f32_e32 v17, v18, v17
	v_fma_f32 v18, v18, v16, -v20
	v_fmac_f32_e32 v17, v19, v16
	v_add_f32_e32 v8, v8, v18
	v_add_f32_e32 v9, v9, v17
	s_cbranch_scc0 .LBB5_242
	s_branch .LBB5_239
.LBB5_243:                              ;   in Loop: Header=BB5_234 Depth=1
	s_mul_i32 s11, s11, s4
	v_cmp_gt_i32_e32 vcc, s11, v0
	s_and_saveexec_b64 s[0:1], vcc
	s_cbranch_execz .LBB5_233
; %bb.244:                              ;   in Loop: Header=BB5_234 Depth=1
	s_lshl_b64 s[12:13], s[4:5], 3
	s_add_u32 s14, s20, s12
	s_mul_i32 s12, s4, s21
	s_addc_u32 s15, s34, s13
	s_ashr_i32 s13, s12, 31
	s_lshl_b64 s[12:13], s[12:13], 3
	s_add_u32 s16, s33, s12
	s_addc_u32 s17, s42, s13
	s_abs_i32 s18, s4
	v_cvt_f32_u32_e32 v2, s18
	s_sub_i32 s26, 0, s18
	s_mov_b64 s[12:13], 0
	s_ashr_i32 s19, s4, 31
	v_rcp_iflag_f32_e32 v2, v2
	v_mov_b32_e32 v11, v0
	v_mul_f32_e32 v2, 0x4f7ffffe, v2
	v_cvt_u32_f32_e32 v2, v2
	v_mul_lo_u32 v4, s26, v2
	v_mul_hi_u32 v4, v2, v4
	v_add_u32_e32 v10, v2, v4
	s_branch .LBB5_246
.LBB5_245:                              ;   in Loop: Header=BB5_246 Depth=2
	v_mad_u64_u32 v[6:7], s[26:27], v4, s21, v[2:3]
	v_ashrrev_i32_e32 v7, 31, v6
	v_lshlrev_b64 v[6:7], 3, v[6:7]
	v_mov_b32_e32 v2, s17
	v_add_co_u32_e32 v6, vcc, s16, v6
	v_addc_co_u32_e32 v7, vcc, v2, v7, vcc
	global_load_dwordx2 v[8:9], v[6:7], off
	v_xor_b32_e32 v16, 0x80000000, v15
	v_mov_b32_e32 v20, v5
	v_mul_f32_e32 v19, 0, v15
	v_add_u32_e32 v11, 0x100, v11
	v_cmp_le_i32_e32 vcc, s11, v11
	s_or_b64 s[12:13], vcc, s[12:13]
	s_waitcnt vmcnt(0)
	v_mov_b32_e32 v21, v8
	v_mov_b32_e32 v17, v9
	v_mul_f32_e32 v4, 0, v9
	v_mov_b32_e32 v18, v8
	v_pk_fma_f32 v[8:9], v[20:21], 0, v[16:17] op_sel_hi:[1,0,1] neg_lo:[1,0,0] neg_hi:[1,0,0]
	v_pk_fma_f32 v[16:17], v[20:21], 0, v[16:17] op_sel_hi:[1,0,1]
	v_pk_add_f32 v[4:5], v[18:19], v[4:5] neg_lo:[0,1] neg_hi:[0,1]
	v_mov_b32_e32 v9, v17
	v_pk_add_f32 v[4:5], v[8:9], v[4:5]
	global_store_dwordx2 v[6:7], v[4:5], off
	s_andn2_b64 exec, exec, s[12:13]
	s_cbranch_execz .LBB5_233
.LBB5_246:                              ;   Parent Loop BB5_234 Depth=1
                                        ; =>  This Loop Header: Depth=2
                                        ;       Child Loop BB5_248 Depth 3
	v_mul_hi_u32 v2, v11, v10
	v_mul_lo_u32 v4, v2, s18
	v_sub_u32_e32 v4, v11, v4
	v_add_u32_e32 v5, 1, v2
	v_cmp_le_u32_e32 vcc, s18, v4
	v_cndmask_b32_e32 v2, v2, v5, vcc
	v_subrev_u32_e32 v5, s18, v4
	v_cndmask_b32_e32 v4, v4, v5, vcc
	v_add_u32_e32 v5, 1, v2
	v_cmp_le_u32_e32 vcc, s18, v4
	v_cndmask_b32_e32 v2, v2, v5, vcc
	v_xor_b32_e32 v2, s19, v2
	v_subrev_u32_e32 v4, s19, v2
	v_mul_lo_u32 v2, v4, s4
	v_sub_u32_e32 v2, v11, v2
	s_andn2_b64 vcc, exec, s[6:7]
	v_mov_b32_e32 v5, 0
	v_mov_b32_e32 v15, 0
	s_cbranch_vccnz .LBB5_245
; %bb.247:                              ;   in Loop: Header=BB5_246 Depth=2
	v_mov_b32_e32 v5, 0
	v_mov_b32_e32 v6, v2
	;; [unrolled: 1-line block ×3, first 2 shown]
	s_mov_b32 s26, s3
	v_mov_b32_e32 v15, 0
.LBB5_248:                              ;   Parent Loop BB5_234 Depth=1
                                        ;     Parent Loop BB5_246 Depth=2
                                        ; =>    This Inner Loop Header: Depth=3
	v_ashrrev_i32_e32 v7, 31, v6
	v_lshlrev_b64 v[16:17], 3, v[6:7]
	v_mov_b32_e32 v7, s36
	v_add_co_u32_e32 v16, vcc, s35, v16
	v_ashrrev_i32_e32 v9, 31, v8
	v_addc_co_u32_e32 v17, vcc, v7, v17, vcc
	v_lshlrev_b64 v[18:19], 3, v[8:9]
	v_mov_b32_e32 v7, s15
	v_add_co_u32_e32 v18, vcc, s14, v18
	v_addc_co_u32_e32 v19, vcc, v7, v19, vcc
	global_load_dwordx2 v[20:21], v[16:17], off
	global_load_dwordx2 v[22:23], v[18:19], off
	s_add_i32 s26, s26, -1
	v_add_u32_e32 v8, s22, v8
	s_cmp_eq_u32 s26, 0
	v_add_u32_e32 v6, s21, v6
	s_waitcnt vmcnt(0)
	v_mul_f32_e32 v7, v23, v21
	v_mul_f32_e32 v9, v22, v21
	v_fma_f32 v7, v22, v20, -v7
	v_fmac_f32_e32 v9, v23, v20
	v_add_f32_e32 v15, v15, v7
	v_add_f32_e32 v5, v5, v9
	s_cbranch_scc0 .LBB5_248
	s_branch .LBB5_245
.LBB5_249:
	s_cmp_ge_i32 s2, s58
	s_waitcnt lgkmcnt(0)
	s_barrier
	s_cbranch_scc1 .LBB5_257
; %bb.250:
	s_lshl_b32 s6, s21, 8
	v_mov_b32_e32 v2, 0
	s_branch .LBB5_253
.LBB5_251:                              ;   in Loop: Header=BB5_253 Depth=1
	s_or_b64 exec, exec, s[0:1]
	s_barrier
.LBB5_252:                              ;   in Loop: Header=BB5_253 Depth=1
	s_cmp_lt_i32 s3, s58
	s_mov_b32 s2, s3
	s_cbranch_scc0 .LBB5_257
.LBB5_253:                              ; =>This Loop Header: Depth=1
                                        ;     Child Loop BB5_256 Depth 2
	s_ashr_i32 s3, s2, 31
	s_lshl_b64 s[0:1], s[2:3], 2
	s_add_u32 s0, s56, s0
	s_addc_u32 s1, s57, s1
	global_load_dword v3, v2, s[0:1]
	s_waitcnt vmcnt(0)
	v_readfirstlane_b32 s0, v3
	s_not_b32 s1, s0
	s_add_i32 s3, s0, -1
	s_cmp_lt_i32 s0, 0
	s_cselect_b32 s7, s1, s3
	s_lshr_b32 s0, s0, 31
	s_add_i32 s4, s2, s0
	s_add_i32 s3, s4, 1
	s_cmp_eq_u32 s7, s2
	s_cselect_b64 s[0:1], -1, 0
	s_cmp_le_i32 s22, s3
	s_cselect_b64 s[8:9], -1, 0
	s_or_b64 s[0:1], s[0:1], s[8:9]
	s_and_b64 vcc, exec, s[0:1]
	s_cbranch_vccnz .LBB5_252
; %bb.254:                              ;   in Loop: Header=BB5_253 Depth=1
	s_sub_i32 s8, s22, s3
	v_cmp_gt_i32_e32 vcc, s8, v0
	s_and_saveexec_b64 s[0:1], vcc
	s_cbranch_execz .LBB5_251
; %bb.255:                              ;   in Loop: Header=BB5_253 Depth=1
	v_add_u32_e32 v3, s4, v1
	v_mul_lo_u32 v3, s21, v3
	s_mov_b64 s[4:5], 0
	v_mov_b32_e32 v4, v0
.LBB5_256:                              ;   Parent Loop BB5_253 Depth=1
                                        ; =>  This Inner Loop Header: Depth=2
	v_add_u32_e32 v6, s7, v3
	v_ashrrev_i32_e32 v7, 31, v6
	v_add_u32_e32 v8, s2, v3
	v_lshlrev_b64 v[6:7], 3, v[6:7]
	v_mov_b32_e32 v5, s42
	v_ashrrev_i32_e32 v9, 31, v8
	v_add_co_u32_e32 v6, vcc, s33, v6
	v_lshlrev_b64 v[8:9], 3, v[8:9]
	v_addc_co_u32_e32 v7, vcc, v5, v7, vcc
	v_mov_b32_e32 v10, s42
	v_add_co_u32_e32 v8, vcc, s33, v8
	v_addc_co_u32_e32 v9, vcc, v10, v9, vcc
	global_load_dwordx2 v[10:11], v[8:9], off
	global_load_dwordx2 v[12:13], v[6:7], off
	v_add_u32_e32 v4, 0x100, v4
	v_cmp_le_i32_e32 vcc, s8, v4
	v_add_u32_e32 v3, s6, v3
	s_or_b64 s[4:5], vcc, s[4:5]
	s_waitcnt vmcnt(1)
	global_store_dwordx2 v[6:7], v[10:11], off
	s_waitcnt vmcnt(1)
	global_store_dwordx2 v[8:9], v[12:13], off
	s_andn2_b64 exec, exec, s[4:5]
	s_cbranch_execnz .LBB5_256
	s_branch .LBB5_251
.LBB5_257:
	s_endpgm
	.section	.rodata,"a",@progbits
	.p2align	6, 0x0
	.amdhsa_kernel _ZN9rocsolver6v33100L18lasyf_kernel_upperI19rocblas_complex_numIfEPS3_EEviiPiT0_iilS5_lS5_PT_
		.amdhsa_group_segment_fixed_size 2068
		.amdhsa_private_segment_fixed_size 0
		.amdhsa_kernarg_size 72
		.amdhsa_user_sgpr_count 6
		.amdhsa_user_sgpr_private_segment_buffer 1
		.amdhsa_user_sgpr_dispatch_ptr 0
		.amdhsa_user_sgpr_queue_ptr 0
		.amdhsa_user_sgpr_kernarg_segment_ptr 1
		.amdhsa_user_sgpr_dispatch_id 0
		.amdhsa_user_sgpr_flat_scratch_init 0
		.amdhsa_user_sgpr_kernarg_preload_length 0
		.amdhsa_user_sgpr_kernarg_preload_offset 0
		.amdhsa_user_sgpr_private_segment_size 0
		.amdhsa_uses_dynamic_stack 0
		.amdhsa_system_sgpr_private_segment_wavefront_offset 0
		.amdhsa_system_sgpr_workgroup_id_x 1
		.amdhsa_system_sgpr_workgroup_id_y 1
		.amdhsa_system_sgpr_workgroup_id_z 0
		.amdhsa_system_sgpr_workgroup_info 0
		.amdhsa_system_vgpr_workitem_id 0
		.amdhsa_next_free_vgpr 38
		.amdhsa_next_free_sgpr 88
		.amdhsa_accum_offset 40
		.amdhsa_reserve_vcc 1
		.amdhsa_reserve_flat_scratch 0
		.amdhsa_float_round_mode_32 0
		.amdhsa_float_round_mode_16_64 0
		.amdhsa_float_denorm_mode_32 3
		.amdhsa_float_denorm_mode_16_64 3
		.amdhsa_dx10_clamp 1
		.amdhsa_ieee_mode 1
		.amdhsa_fp16_overflow 0
		.amdhsa_tg_split 0
		.amdhsa_exception_fp_ieee_invalid_op 0
		.amdhsa_exception_fp_denorm_src 0
		.amdhsa_exception_fp_ieee_div_zero 0
		.amdhsa_exception_fp_ieee_overflow 0
		.amdhsa_exception_fp_ieee_underflow 0
		.amdhsa_exception_fp_ieee_inexact 0
		.amdhsa_exception_int_div_zero 0
	.end_amdhsa_kernel
	.section	.text._ZN9rocsolver6v33100L18lasyf_kernel_upperI19rocblas_complex_numIfEPS3_EEviiPiT0_iilS5_lS5_PT_,"axG",@progbits,_ZN9rocsolver6v33100L18lasyf_kernel_upperI19rocblas_complex_numIfEPS3_EEviiPiT0_iilS5_lS5_PT_,comdat
.Lfunc_end5:
	.size	_ZN9rocsolver6v33100L18lasyf_kernel_upperI19rocblas_complex_numIfEPS3_EEviiPiT0_iilS5_lS5_PT_, .Lfunc_end5-_ZN9rocsolver6v33100L18lasyf_kernel_upperI19rocblas_complex_numIfEPS3_EEviiPiT0_iilS5_lS5_PT_
                                        ; -- End function
	.section	.AMDGPU.csdata,"",@progbits
; Kernel info:
; codeLenInByte = 11400
; NumSgprs: 92
; NumVgprs: 38
; NumAgprs: 0
; TotalNumVgprs: 38
; ScratchSize: 0
; MemoryBound: 0
; FloatMode: 240
; IeeeMode: 1
; LDSByteSize: 2068 bytes/workgroup (compile time only)
; SGPRBlocks: 11
; VGPRBlocks: 4
; NumSGPRsForWavesPerEU: 92
; NumVGPRsForWavesPerEU: 38
; AccumOffset: 40
; Occupancy: 8
; WaveLimiterHint : 1
; COMPUTE_PGM_RSRC2:SCRATCH_EN: 0
; COMPUTE_PGM_RSRC2:USER_SGPR: 6
; COMPUTE_PGM_RSRC2:TRAP_HANDLER: 0
; COMPUTE_PGM_RSRC2:TGID_X_EN: 1
; COMPUTE_PGM_RSRC2:TGID_Y_EN: 1
; COMPUTE_PGM_RSRC2:TGID_Z_EN: 0
; COMPUTE_PGM_RSRC2:TIDIG_COMP_CNT: 0
; COMPUTE_PGM_RSRC3_GFX90A:ACCUM_OFFSET: 9
; COMPUTE_PGM_RSRC3_GFX90A:TG_SPLIT: 0
	.section	.text._ZN9rocsolver6v33100L18lasyf_kernel_lowerI19rocblas_complex_numIfEPS3_EEviiPiT0_iilS5_lS5_PT_,"axG",@progbits,_ZN9rocsolver6v33100L18lasyf_kernel_lowerI19rocblas_complex_numIfEPS3_EEviiPiT0_iilS5_lS5_PT_,comdat
	.globl	_ZN9rocsolver6v33100L18lasyf_kernel_lowerI19rocblas_complex_numIfEPS3_EEviiPiT0_iilS5_lS5_PT_ ; -- Begin function _ZN9rocsolver6v33100L18lasyf_kernel_lowerI19rocblas_complex_numIfEPS3_EEviiPiT0_iilS5_lS5_PT_
	.p2align	8
	.type	_ZN9rocsolver6v33100L18lasyf_kernel_lowerI19rocblas_complex_numIfEPS3_EEviiPiT0_iilS5_lS5_PT_,@function
_ZN9rocsolver6v33100L18lasyf_kernel_lowerI19rocblas_complex_numIfEPS3_EEviiPiT0_iilS5_lS5_PT_: ; @_ZN9rocsolver6v33100L18lasyf_kernel_lowerI19rocblas_complex_numIfEPS3_EEviiPiT0_iilS5_lS5_PT_
; %bb.0:
	s_mov_b32 s34, s7
	v_cmp_eq_u32_e64 s[0:1], 0, v0
	s_and_saveexec_b64 s[2:3], s[0:1]
	s_cbranch_execz .LBB6_2
; %bb.1:
	v_mov_b32_e32 v1, 0
	ds_write_b32 v1, v1 offset:2052
.LBB6_2:
	s_or_b64 exec, exec, s[2:3]
	s_load_dwordx2 s[20:21], s[4:5], 0x18
	s_load_dwordx2 s[22:23], s[4:5], 0x0
	s_load_dwordx4 s[16:19], s[4:5], 0x8
	s_load_dwordx8 s[8:15], s[4:5], 0x20
	s_load_dwordx2 s[26:27], s[4:5], 0x40
	s_ashr_i32 s35, s34, 31
	s_waitcnt lgkmcnt(0)
	s_ashr_i32 s3, s20, 31
	s_mov_b32 s2, s20
	s_mul_i32 s4, s34, s9
	s_mul_hi_u32 s5, s34, s8
	s_add_i32 s4, s5, s4
	s_mul_i32 s5, s35, s8
	s_add_i32 s5, s4, s5
	s_mul_i32 s4, s34, s8
	s_lshl_b64 s[28:29], s[4:5], 3
	s_add_u32 s4, s18, s28
	s_addc_u32 s5, s19, s29
	s_lshl_b64 s[30:31], s[2:3], 3
	s_mul_i32 s2, s34, s22
	s_add_u32 s33, s4, s30
	s_mul_i32 s2, s2, s23
	s_addc_u32 s48, s5, s31
	s_ashr_i32 s3, s2, 31
	s_lshl_b64 s[36:37], s[2:3], 3
	s_add_u32 s24, s26, s36
	s_mul_i32 s2, s34, s13
	s_mul_hi_u32 s3, s34, s12
	s_addc_u32 s25, s27, s37
	s_add_i32 s2, s3, s2
	s_mul_i32 s3, s35, s12
	s_add_i32 s3, s2, s3
	s_mul_i32 s2, s34, s12
	s_lshl_b64 s[2:3], s[2:3], 2
	s_add_u32 s64, s10, s2
	s_addc_u32 s65, s11, s3
	s_cmp_lt_i32 s22, 1
	v_lshlrev_b32_e32 v31, 3, v0
	v_mul_lo_u32 v30, v0, s21
	s_cbranch_scc1 .LBB6_258
; %bb.3:
	s_add_i32 s66, s23, -1
	s_cmp_eq_u32 s23, s22
	s_cselect_b64 s[38:39], -1, 0
	s_add_i32 s67, s22, -1
	s_add_i32 s68, s21, 1
	s_add_i32 s69, s22, -2
	s_add_i32 s70, s22, 1
	s_add_u32 s71, s33, -8
	s_addc_u32 s72, s48, -1
	s_add_u32 s73, s26, s36
	s_addc_u32 s74, s27, s37
	s_add_u32 s6, s28, s30
	s_addc_u32 s7, s29, s31
	;; [unrolled: 2-line block ×3, first 2 shown]
	s_mov_b32 s20, 0
	s_add_u32 s77, s73, 4
	s_mov_b32 s6, s22
	s_mov_b32 s7, s20
	s_addc_u32 s78, s74, 0
	s_lshl_b64 s[40:41], s[6:7], 3
	v_mov_b32_e32 v35, s76
	v_add_co_u32_e32 v36, vcc, s75, v31
	s_ashr_i32 s7, s21, 31
	s_mov_b32 s6, s21
	v_addc_co_u32_e32 v37, vcc, 0, v35, vcc
	s_lshl_b64 s[42:43], s[6:7], 3
	s_lshl_b32 s6, s22, 8
	v_mov_b32_e32 v1, s74
	v_add_co_u32_e32 v38, vcc, s73, v31
	s_ashr_i32 s7, s6, 31
	v_addc_co_u32_e32 v39, vcc, 0, v1, vcc
	s_lshl_b32 s79, s21, 8
	s_lshl_b64 s[44:45], s[6:7], 3
	v_lshlrev_b32_e32 v32, 2, v0
	s_movk_i32 s2, 0x80
	v_add_u32_e32 v34, 2, v0
	v_add_co_u32_e32 v40, vcc, 8, v38
	v_mul_lo_u32 v4, v0, s22
	s_add_u32 s80, s75, 4
	v_mov_b32_e32 v7, 0
	v_or_b32_e32 v33, 0x400, v32
	v_cmp_gt_u32_e64 s[2:3], s2, v0
	v_cmp_gt_u32_e64 s[4:5], 64, v0
	v_addc_co_u32_e32 v41, vcc, 0, v39, vcc
	v_mul_lo_u32 v42, v0, s21
	v_ashrrev_i32_e32 v1, 31, v4
	v_add_u32_e32 v43, s21, v34
	s_addc_u32 s81, s76, 0
	s_mov_b64 s[46:47], 0
	s_brev_b32 s82, -2
	s_mov_b32 s49, 1.0
	v_mov_b32_e32 v8, -1.0
	s_mov_b32 s50, -1.0
	s_movk_i32 s83, 0x800
	v_mov_b32_e32 v2, v7
                                        ; implicit-def: $sgpr52_sgpr53
	s_branch .LBB6_6
.LBB6_4:                                ;   in Loop: Header=BB6_6 Depth=1
	s_or_b64 exec, exec, s[6:7]
	v_add_u32_e32 v2, v5, v2
	v_cmp_le_i32_e32 vcc, s22, v2
	s_andn2_b64 s[6:7], s[52:53], exec
	s_and_b64 s[8:9], vcc, exec
	s_or_b64 s[52:53], s[6:7], s[8:9]
.LBB6_5:                                ;   in Loop: Header=BB6_6 Depth=1
	s_or_b64 exec, exec, s[54:55]
	s_and_b64 s[6:7], exec, s[52:53]
	s_or_b64 s[46:47], s[6:7], s[46:47]
	s_andn2_b64 exec, exec, s[46:47]
	s_cbranch_execz .LBB6_226
.LBB6_6:                                ; =>This Loop Header: Depth=1
                                        ;     Child Loop BB6_11 Depth 2
                                        ;     Child Loop BB6_16 Depth 2
                                        ;       Child Loop BB6_18 Depth 3
                                        ;     Child Loop BB6_22 Depth 2
                                        ;     Child Loop BB6_64 Depth 2
                                        ;     Child Loop BB6_69 Depth 2
                                        ;     Child Loop BB6_74 Depth 2
                                        ;       Child Loop BB6_76 Depth 3
                                        ;     Child Loop BB6_81 Depth 2
                                        ;     Child Loop BB6_122 Depth 2
	;; [unrolled: 1-line block ×9, first 2 shown]
	v_cmp_gt_i32_e32 vcc, s66, v2
	s_or_b64 s[6:7], s[38:39], vcc
	s_or_b64 s[52:53], s[52:53], exec
	s_and_saveexec_b64 s[54:55], s[6:7]
	s_cbranch_execz .LBB6_5
; %bb.7:                                ;   in Loop: Header=BB6_6 Depth=1
	v_sub_u32_e32 v5, s22, v2
	v_cmp_gt_i32_e64 s[8:9], v5, v0
	v_cmp_le_i32_e32 vcc, v5, v0
	v_mul_lo_u32 v10, v2, s22
	s_and_saveexec_b64 s[6:7], vcc
	s_xor_b64 s[6:7], exec, s[6:7]
; %bb.8:                                ;   in Loop: Header=BB6_6 Depth=1
	v_mul_lo_u32 v10, v2, s22
; %bb.9:                                ;   in Loop: Header=BB6_6 Depth=1
	s_andn2_saveexec_b64 s[6:7], s[6:7]
	s_cbranch_execz .LBB6_13
; %bb.10:                               ;   in Loop: Header=BB6_6 Depth=1
	v_mad_u64_u32 v[12:13], s[10:11], s70, v2, v[0:1]
	v_mov_b32_e32 v13, v7
	v_lshlrev_b64 v[12:13], 3, v[12:13]
	v_mad_u64_u32 v[14:15], s[10:11], s68, v2, v[0:1]
	v_mov_b32_e32 v3, s74
	v_add_co_u32_e32 v12, vcc, s73, v12
	v_ashrrev_i32_e32 v15, 31, v14
	v_addc_co_u32_e32 v13, vcc, v3, v13, vcc
	v_lshlrev_b64 v[14:15], 3, v[14:15]
	v_add_co_u32_e32 v14, vcc, s75, v14
	v_addc_co_u32_e32 v15, vcc, v35, v15, vcc
	s_mov_b64 s[10:11], 0
	v_mov_b32_e32 v3, v0
.LBB6_11:                               ;   Parent Loop BB6_6 Depth=1
                                        ; =>  This Inner Loop Header: Depth=2
	global_load_dwordx2 v[16:17], v[14:15], off
	v_add_u32_e32 v3, 0x100, v3
	v_cmp_ge_i32_e32 vcc, v3, v5
	s_or_b64 s[10:11], vcc, s[10:11]
	s_waitcnt vmcnt(0)
	global_store_dwordx2 v[12:13], v[16:17], off
	v_add_co_u32_e32 v12, vcc, 0x800, v12
	v_addc_co_u32_e32 v13, vcc, 0, v13, vcc
	v_add_co_u32_e32 v14, vcc, 0x800, v14
	v_addc_co_u32_e32 v15, vcc, 0, v15, vcc
	s_andn2_b64 exec, exec, s[10:11]
	s_cbranch_execnz .LBB6_11
; %bb.12:                               ;   in Loop: Header=BB6_6 Depth=1
	s_or_b64 exec, exec, s[10:11]
.LBB6_13:                               ;   in Loop: Header=BB6_6 Depth=1
	s_or_b64 exec, exec, s[6:7]
	v_mov_b32_e32 v3, v7
	v_lshlrev_b64 v[14:15], 3, v[2:3]
	v_mov_b32_e32 v6, s25
	v_add_co_u32_e32 v28, vcc, s24, v14
	v_ashrrev_i32_e32 v11, 31, v10
	v_addc_co_u32_e32 v29, vcc, v6, v15, vcc
	v_lshlrev_b64 v[16:17], 3, v[10:11]
	v_add_co_u32_e32 v12, vcc, v28, v16
	v_addc_co_u32_e32 v13, vcc, v29, v17, vcc
	s_barrier
	s_and_saveexec_b64 s[12:13], s[8:9]
	s_cbranch_execz .LBB6_20
; %bb.14:                               ;   in Loop: Header=BB6_6 Depth=1
	v_mov_b32_e32 v6, s78
	v_add_co_u32_e32 v18, vcc, s77, v14
	v_addc_co_u32_e32 v19, vcc, v6, v15, vcc
	v_add_co_u32_e32 v20, vcc, v36, v14
	v_cmp_ne_u32_e64 s[6:7], 0, v2
	v_addc_co_u32_e32 v21, vcc, v37, v15, vcc
	s_mov_b64 s[56:57], 0
	v_mov_b32_e32 v6, v0
	s_branch .LBB6_16
.LBB6_15:                               ;   in Loop: Header=BB6_16 Depth=2
	s_or_b64 exec, exec, s[58:59]
	v_lshlrev_b64 v[24:25], 3, v[6:7]
	v_add_co_u32_e32 v24, vcc, v12, v24
	v_addc_co_u32_e32 v25, vcc, v13, v25, vcc
	global_load_dwordx2 v[26:27], v[24:25], off
	v_xor_b32_e32 v44, 0x80000000, v9
	v_mov_b32_e32 v48, v23
	v_mul_f32_e32 v47, 0, v9
	v_add_u32_e32 v6, 0x100, v6
	v_add_co_u32_e32 v20, vcc, 0x800, v20
	v_cmp_ge_i32_e64 s[10:11], v6, v5
	s_or_b64 s[56:57], s[10:11], s[56:57]
	v_addc_co_u32_e32 v21, vcc, 0, v21, vcc
	s_waitcnt vmcnt(0)
	v_mov_b32_e32 v49, v26
	v_mov_b32_e32 v45, v27
	v_mul_f32_e32 v22, 0, v27
	v_mov_b32_e32 v46, v26
	v_pk_fma_f32 v[26:27], v[48:49], 0, v[44:45] op_sel_hi:[1,0,1] neg_lo:[1,0,0] neg_hi:[1,0,0]
	v_pk_fma_f32 v[44:45], v[48:49], 0, v[44:45] op_sel_hi:[1,0,1]
	v_pk_add_f32 v[22:23], v[46:47], v[22:23] neg_lo:[0,1] neg_hi:[0,1]
	v_mov_b32_e32 v27, v45
	v_pk_add_f32 v[22:23], v[26:27], v[22:23]
	global_store_dwordx2 v[24:25], v[22:23], off
	s_andn2_b64 exec, exec, s[56:57]
	s_cbranch_execz .LBB6_20
.LBB6_16:                               ;   Parent Loop BB6_6 Depth=1
                                        ; =>  This Loop Header: Depth=2
                                        ;       Child Loop BB6_18 Depth 3
	v_mov_b32_e32 v23, 0
	v_mov_b32_e32 v9, 0
	s_and_saveexec_b64 s[58:59], s[6:7]
	s_cbranch_execz .LBB6_15
; %bb.17:                               ;   in Loop: Header=BB6_16 Depth=2
	s_mov_b64 s[60:61], 0
	v_mov_b32_e32 v23, 0
	v_pk_mov_b32 v[24:25], v[20:21], v[20:21] op_sel:[0,1]
	v_pk_mov_b32 v[26:27], v[18:19], v[18:19] op_sel:[0,1]
	v_mov_b32_e32 v11, v2
	v_mov_b32_e32 v9, 0
.LBB6_18:                               ;   Parent Loop BB6_6 Depth=1
                                        ;     Parent Loop BB6_16 Depth=2
                                        ; =>    This Inner Loop Header: Depth=3
	global_load_dwordx2 v[44:45], v[24:25], off
	global_load_dwordx2 v[46:47], v[26:27], off offset:-4
	v_mov_b32_e32 v22, s41
	v_mov_b32_e32 v48, s43
	v_add_co_u32_e32 v24, vcc, s42, v24
	v_add_co_u32_e64 v26, s[10:11], s40, v26
	v_add_u32_e32 v11, -1, v11
	v_addc_co_u32_e64 v27, s[10:11], v27, v22, s[10:11]
	v_addc_co_u32_e32 v25, vcc, v25, v48, vcc
	v_cmp_eq_u32_e32 vcc, 0, v11
	s_or_b64 s[60:61], vcc, s[60:61]
	s_waitcnt vmcnt(0)
	v_mul_f32_e32 v22, v47, v45
	v_mul_f32_e32 v45, v46, v45
	v_fma_f32 v22, v46, v44, -v22
	v_fmac_f32_e32 v45, v47, v44
	v_add_f32_e32 v9, v9, v22
	v_add_f32_e32 v23, v23, v45
	s_andn2_b64 exec, exec, s[60:61]
	s_cbranch_execnz .LBB6_18
; %bb.19:                               ;   in Loop: Header=BB6_16 Depth=2
	s_or_b64 exec, exec, s[60:61]
	s_branch .LBB6_15
.LBB6_20:                               ;   in Loop: Header=BB6_6 Depth=1
	s_or_b64 exec, exec, s[12:13]
	v_add_u32_e32 v9, -1, v5
	v_cmp_gt_i32_e64 s[6:7], v9, v0
	v_mov_b32_e32 v11, 0
	v_bfrev_b32_e32 v6, -2
	s_barrier
	s_and_saveexec_b64 s[56:57], s[6:7]
	s_cbranch_execz .LBB6_24
; %bb.21:                               ;   in Loop: Header=BB6_6 Depth=1
	v_add_co_u32_e32 v6, vcc, v16, v14
	v_addc_co_u32_e32 v11, vcc, v17, v15, vcc
	v_add_co_u32_e32 v16, vcc, v40, v6
	v_addc_co_u32_e32 v17, vcc, v41, v11, vcc
	s_mov_b64 s[58:59], 0
	v_mov_b32_e32 v11, 0
	v_bfrev_b32_e32 v6, -2
	v_mov_b32_e32 v18, v0
.LBB6_22:                               ;   Parent Loop BB6_6 Depth=1
                                        ; =>  This Inner Loop Header: Depth=2
	global_load_dwordx2 v[20:21], v[16:17], off
	v_add_co_u32_e32 v16, vcc, 0x800, v16
	v_cmp_eq_u32_e64 s[10:11], s82, v6
	v_add_u32_e32 v19, 1, v18
	v_add_u32_e32 v18, 0x100, v18
	v_addc_co_u32_e32 v17, vcc, 0, v17, vcc
	v_cmp_ge_i32_e32 vcc, v18, v9
	s_waitcnt vmcnt(0)
	v_cmp_gt_f32_e64 s[12:13], 0, v21
	v_cndmask_b32_e64 v21, v21, -v21, s[12:13]
	v_cmp_gt_f32_e64 s[12:13], 0, v20
	v_cndmask_b32_e64 v20, v20, -v20, s[12:13]
	v_add_f32_e32 v20, v20, v21
	v_cmp_lt_f32_e64 s[12:13], v11, v20
	s_or_b64 s[10:11], s[12:13], s[10:11]
	v_cndmask_b32_e64 v6, v6, v19, s[10:11]
	s_or_b64 s[58:59], vcc, s[58:59]
	v_cndmask_b32_e64 v11, v11, v20, s[10:11]
	s_andn2_b64 exec, exec, s[58:59]
	s_cbranch_execnz .LBB6_22
; %bb.23:                               ;   in Loop: Header=BB6_6 Depth=1
	s_or_b64 exec, exec, s[58:59]
.LBB6_24:                               ;   in Loop: Header=BB6_6 Depth=1
	s_or_b64 exec, exec, s[56:57]
	v_cmp_lt_i32_e32 vcc, 2, v5
	ds_write_b32 v33, v11
	ds_write_b32 v32, v6
	s_waitcnt lgkmcnt(0)
	s_barrier
	s_and_saveexec_b64 s[56:57], vcc
	s_cbranch_execz .LBB6_58
; %bb.25:                               ;   in Loop: Header=BB6_6 Depth=1
	s_and_saveexec_b64 s[12:13], s[2:3]
	s_cbranch_execz .LBB6_31
; %bb.26:                               ;   in Loop: Header=BB6_6 Depth=1
	ds_read_b32 v16, v33 offset:512
	ds_read_b32 v17, v32 offset:512
	s_waitcnt lgkmcnt(1)
	v_cmp_lt_f32_e64 s[58:59], v11, v16
	v_cmp_nlt_f32_e32 vcc, v11, v16
	s_and_saveexec_b64 s[60:61], vcc
	s_cbranch_execz .LBB6_28
; %bb.27:                               ;   in Loop: Header=BB6_6 Depth=1
	v_cmp_eq_f32_e32 vcc, v11, v16
	s_waitcnt lgkmcnt(0)
	v_cmp_gt_i32_e64 s[10:11], v6, v17
	s_and_b64 s[10:11], vcc, s[10:11]
	s_andn2_b64 s[58:59], s[58:59], exec
	s_and_b64 s[10:11], s[10:11], exec
	s_or_b64 s[58:59], s[58:59], s[10:11]
.LBB6_28:                               ;   in Loop: Header=BB6_6 Depth=1
	s_or_b64 exec, exec, s[60:61]
	s_and_saveexec_b64 s[10:11], s[58:59]
	s_cbranch_execz .LBB6_30
; %bb.29:                               ;   in Loop: Header=BB6_6 Depth=1
	v_mov_b32_e32 v11, v16
	s_waitcnt lgkmcnt(0)
	v_mov_b32_e32 v6, v17
	ds_write_b32 v33, v16
	ds_write_b32 v32, v17
.LBB6_30:                               ;   in Loop: Header=BB6_6 Depth=1
	s_or_b64 exec, exec, s[10:11]
.LBB6_31:                               ;   in Loop: Header=BB6_6 Depth=1
	s_or_b64 exec, exec, s[12:13]
	s_waitcnt lgkmcnt(0)
	s_barrier
	s_and_b64 exec, exec, s[4:5]
	s_cbranch_execz .LBB6_58
; %bb.32:                               ;   in Loop: Header=BB6_6 Depth=1
	ds_read_b32 v16, v33 offset:256
	ds_read_b32 v17, v32 offset:256
	s_waitcnt lgkmcnt(1)
	v_cmp_lt_f32_e64 s[12:13], v11, v16
	v_cmp_nlt_f32_e32 vcc, v11, v16
	s_and_saveexec_b64 s[58:59], vcc
	s_cbranch_execz .LBB6_34
; %bb.33:                               ;   in Loop: Header=BB6_6 Depth=1
	v_cmp_eq_f32_e32 vcc, v11, v16
	s_waitcnt lgkmcnt(0)
	v_cmp_gt_i32_e64 s[10:11], v6, v17
	s_and_b64 s[10:11], vcc, s[10:11]
	s_andn2_b64 s[12:13], s[12:13], exec
	s_and_b64 s[10:11], s[10:11], exec
	s_or_b64 s[12:13], s[12:13], s[10:11]
.LBB6_34:                               ;   in Loop: Header=BB6_6 Depth=1
	s_or_b64 exec, exec, s[58:59]
	s_and_saveexec_b64 s[10:11], s[12:13]
	s_cbranch_execz .LBB6_36
; %bb.35:                               ;   in Loop: Header=BB6_6 Depth=1
	s_waitcnt lgkmcnt(0)
	v_mov_b32_e32 v6, v17
	v_mov_b32_e32 v11, v16
	ds_write_b32 v33, v16
	ds_write_b32 v32, v17
.LBB6_36:                               ;   in Loop: Header=BB6_6 Depth=1
	s_or_b64 exec, exec, s[10:11]
	ds_read_b32 v16, v33 offset:128
	s_waitcnt lgkmcnt(1)
	ds_read_b32 v17, v32 offset:128
	s_waitcnt lgkmcnt(1)
	v_cmp_lt_f32_e64 s[12:13], v11, v16
	v_cmp_nlt_f32_e32 vcc, v11, v16
	s_and_saveexec_b64 s[58:59], vcc
	s_cbranch_execz .LBB6_38
; %bb.37:                               ;   in Loop: Header=BB6_6 Depth=1
	v_cmp_eq_f32_e32 vcc, v11, v16
	s_waitcnt lgkmcnt(0)
	v_cmp_gt_i32_e64 s[10:11], v6, v17
	s_and_b64 s[10:11], vcc, s[10:11]
	s_andn2_b64 s[12:13], s[12:13], exec
	s_and_b64 s[10:11], s[10:11], exec
	s_or_b64 s[12:13], s[12:13], s[10:11]
.LBB6_38:                               ;   in Loop: Header=BB6_6 Depth=1
	s_or_b64 exec, exec, s[58:59]
	s_and_saveexec_b64 s[10:11], s[12:13]
	s_cbranch_execz .LBB6_40
; %bb.39:                               ;   in Loop: Header=BB6_6 Depth=1
	s_waitcnt lgkmcnt(0)
	v_mov_b32_e32 v6, v17
	v_mov_b32_e32 v11, v16
	ds_write_b32 v33, v16
	ds_write_b32 v32, v17
.LBB6_40:                               ;   in Loop: Header=BB6_6 Depth=1
	s_or_b64 exec, exec, s[10:11]
	ds_read_b32 v16, v33 offset:64
	s_waitcnt lgkmcnt(1)
	;; [unrolled: 28-line block ×6, first 2 shown]
	ds_read_b32 v17, v32 offset:4
	s_waitcnt lgkmcnt(1)
	v_cmp_eq_f32_e64 s[10:11], v11, v16
	s_waitcnt lgkmcnt(0)
	v_cmp_gt_i32_e64 s[12:13], v6, v17
	v_cmp_lt_f32_e32 vcc, v11, v16
	s_and_b64 s[10:11], s[10:11], s[12:13]
	s_or_b64 s[10:11], vcc, s[10:11]
	s_and_b64 exec, exec, s[10:11]
	s_cbranch_execz .LBB6_58
; %bb.57:                               ;   in Loop: Header=BB6_6 Depth=1
	ds_write_b32 v33, v16
	ds_write_b32 v32, v17
.LBB6_58:                               ;   in Loop: Header=BB6_6 Depth=1
	s_or_b64 exec, exec, s[56:57]
	s_and_saveexec_b64 s[10:11], s[0:1]
	s_cbranch_execz .LBB6_60
; %bb.59:                               ;   in Loop: Header=BB6_6 Depth=1
	global_load_dwordx2 v[16:17], v[12:13], off
	ds_read2st64_b32 v[18:19], v7 offset1:4
	s_waitcnt lgkmcnt(0)
	v_add_u32_e32 v6, v18, v2
	ds_write_b32 v7, v6 offset:2048
	s_waitcnt vmcnt(0)
	v_cmp_gt_f32_e32 vcc, 0, v17
	v_cndmask_b32_e64 v6, v17, -v17, vcc
	v_cmp_gt_f32_e32 vcc, 0, v16
	v_cndmask_b32_e64 v11, v16, -v16, vcc
	v_add_f32_e32 v18, v11, v6
	ds_write_b64 v7, v[18:19] offset:2056
.LBB6_60:                               ;   in Loop: Header=BB6_6 Depth=1
	s_or_b64 exec, exec, s[10:11]
	s_waitcnt lgkmcnt(0)
	s_barrier
	ds_read_b64 v[16:17], v7 offset:2056
	v_add_u32_e32 v44, 1, v2
	s_waitcnt lgkmcnt(0)
	v_cmp_lt_f32_e32 vcc, v16, v17
	v_cndmask_b32_e32 v6, v16, v17, vcc
	v_cmp_neq_f32_e32 vcc, 0, v6
	s_cbranch_vccz .LBB6_78
; %bb.61:                               ;   in Loop: Header=BB6_6 Depth=1
	v_mul_f32_e32 v6, 0x3f23f07b, v17
	v_cmp_ge_f32_e32 vcc, v16, v6
	s_cbranch_vccnz .LBB6_169
; %bb.62:                               ;   in Loop: Header=BB6_6 Depth=1
	ds_read_b32 v6, v7 offset:2048
	s_waitcnt lgkmcnt(0)
	v_sub_u32_e32 v11, v6, v2
	v_cmp_gt_i32_e32 vcc, v11, v0
	s_and_saveexec_b64 s[10:11], vcc
	s_cbranch_execz .LBB6_65
; %bb.63:                               ;   in Loop: Header=BB6_6 Depth=1
	v_add_u32_e32 v18, v0, v2
	v_mad_u64_u32 v[16:17], s[12:13], v44, s22, v[18:19]
	v_ashrrev_i32_e32 v17, 31, v16
	v_lshlrev_b64 v[16:17], 3, v[16:17]
	v_mov_b32_e32 v19, s74
	v_add_co_u32_e32 v16, vcc, s73, v16
	v_mul_lo_u32 v18, s21, v18
	v_addc_co_u32_e32 v17, vcc, v19, v17, vcc
	v_add_u32_e32 v18, v6, v18
	s_mov_b64 s[12:13], 0
	v_mov_b32_e32 v20, v0
.LBB6_64:                               ;   Parent Loop BB6_6 Depth=1
                                        ; =>  This Inner Loop Header: Depth=2
	v_ashrrev_i32_e32 v19, 31, v18
	v_lshlrev_b64 v[22:23], 3, v[18:19]
	v_mov_b32_e32 v21, s48
	v_add_co_u32_e32 v22, vcc, s33, v22
	v_addc_co_u32_e32 v23, vcc, v21, v23, vcc
	global_load_dwordx2 v[22:23], v[22:23], off
	v_add_u32_e32 v20, 0x100, v20
	v_cmp_ge_i32_e32 vcc, v20, v11
	s_or_b64 s[12:13], vcc, s[12:13]
	v_add_u32_e32 v18, s79, v18
	s_waitcnt vmcnt(0)
	global_store_dwordx2 v[16:17], v[22:23], off
	v_add_co_u32_e32 v16, vcc, 0x800, v16
	v_addc_co_u32_e32 v17, vcc, 0, v17, vcc
	s_andn2_b64 exec, exec, s[12:13]
	s_cbranch_execnz .LBB6_64
.LBB6_65:                               ;   in Loop: Header=BB6_6 Depth=1
	s_or_b64 exec, exec, s[10:11]
	v_sub_u32_e32 v11, s22, v6
	v_cmp_le_i32_e32 vcc, v11, v0
                                        ; implicit-def: $vgpr16
	s_and_saveexec_b64 s[10:11], vcc
	s_xor_b64 s[10:11], exec, s[10:11]
; %bb.66:                               ;   in Loop: Header=BB6_6 Depth=1
	v_mul_lo_u32 v16, v44, s22
                                        ; implicit-def: $vgpr11
                                        ; implicit-def: $vgpr6
; %bb.67:                               ;   in Loop: Header=BB6_6 Depth=1
	s_andn2_saveexec_b64 s[10:11], s[10:11]
	s_cbranch_execz .LBB6_71
; %bb.68:                               ;   in Loop: Header=BB6_6 Depth=1
	v_mul_lo_u32 v16, v44, s22
	v_add3_u32 v18, v0, v6, v16
	v_ashrrev_i32_e32 v19, 31, v18
	v_mul_lo_u32 v6, s68, v6
	v_lshlrev_b64 v[18:19], 3, v[18:19]
	v_add_u32_e32 v20, v0, v6
	v_mov_b32_e32 v17, s74
	v_add_co_u32_e32 v18, vcc, s73, v18
	v_ashrrev_i32_e32 v21, 31, v20
	v_addc_co_u32_e32 v19, vcc, v17, v19, vcc
	v_lshlrev_b64 v[20:21], 3, v[20:21]
	v_mov_b32_e32 v6, s76
	v_add_co_u32_e32 v20, vcc, s75, v20
	v_addc_co_u32_e32 v21, vcc, v6, v21, vcc
	s_mov_b64 s[12:13], 0
	v_mov_b32_e32 v6, v0
.LBB6_69:                               ;   Parent Loop BB6_6 Depth=1
                                        ; =>  This Inner Loop Header: Depth=2
	global_load_dwordx2 v[22:23], v[20:21], off
	v_add_u32_e32 v6, 0x100, v6
	v_cmp_ge_i32_e32 vcc, v6, v11
	s_or_b64 s[12:13], vcc, s[12:13]
	s_waitcnt vmcnt(0)
	global_store_dwordx2 v[18:19], v[22:23], off
	v_add_co_u32_e32 v18, vcc, 0x800, v18
	v_addc_co_u32_e32 v19, vcc, 0, v19, vcc
	v_add_co_u32_e32 v20, vcc, 0x800, v20
	v_addc_co_u32_e32 v21, vcc, 0, v21, vcc
	s_andn2_b64 exec, exec, s[12:13]
	s_cbranch_execnz .LBB6_69
; %bb.70:                               ;   in Loop: Header=BB6_6 Depth=1
	s_or_b64 exec, exec, s[12:13]
.LBB6_71:                               ;   in Loop: Header=BB6_6 Depth=1
	s_or_b64 exec, exec, s[10:11]
	v_ashrrev_i32_e32 v17, 31, v16
	s_barrier
	s_and_saveexec_b64 s[56:57], s[8:9]
	s_cbranch_execz .LBB6_79
; %bb.72:                               ;   in Loop: Header=BB6_6 Depth=1
	ds_read_b32 v18, v7 offset:2048
	v_lshlrev_b64 v[20:21], 3, v[16:17]
	v_add_co_u32_e32 v11, vcc, v28, v20
	v_addc_co_u32_e32 v28, vcc, v29, v21, vcc
	s_waitcnt lgkmcnt(0)
	v_ashrrev_i32_e32 v19, 31, v18
	v_lshlrev_b64 v[18:19], 3, v[18:19]
	v_mov_b32_e32 v6, s78
	v_add_co_u32_e32 v18, vcc, s77, v18
	v_addc_co_u32_e32 v19, vcc, v6, v19, vcc
	v_add_co_u32_e32 v20, vcc, v36, v14
	v_cmp_ne_u32_e64 s[10:11], 0, v2
	v_addc_co_u32_e32 v21, vcc, v37, v15, vcc
	s_mov_b64 s[58:59], 0
	v_mov_b32_e32 v6, v0
	s_branch .LBB6_74
.LBB6_73:                               ;   in Loop: Header=BB6_74 Depth=2
	s_or_b64 exec, exec, s[60:61]
	v_lshlrev_b64 v[24:25], 3, v[6:7]
	v_add_co_u32_e32 v24, vcc, v11, v24
	v_addc_co_u32_e32 v25, vcc, v28, v25, vcc
	global_load_dwordx2 v[26:27], v[24:25], off
	v_xor_b32_e32 v46, 0x80000000, v22
	v_mov_b32_e32 v50, v23
	v_mul_f32_e32 v49, 0, v22
	v_add_u32_e32 v6, 0x100, v6
	v_add_co_u32_e32 v20, vcc, 0x800, v20
	v_cmp_ge_i32_e64 s[12:13], v6, v5
	s_or_b64 s[58:59], s[12:13], s[58:59]
	v_addc_co_u32_e32 v21, vcc, 0, v21, vcc
	s_waitcnt vmcnt(0)
	v_mov_b32_e32 v51, v26
	v_mov_b32_e32 v47, v27
	v_mul_f32_e32 v22, 0, v27
	v_mov_b32_e32 v48, v26
	v_pk_fma_f32 v[26:27], v[50:51], 0, v[46:47] op_sel_hi:[1,0,1] neg_lo:[1,0,0] neg_hi:[1,0,0]
	v_pk_fma_f32 v[46:47], v[50:51], 0, v[46:47] op_sel_hi:[1,0,1]
	v_pk_add_f32 v[22:23], v[48:49], v[22:23] neg_lo:[0,1] neg_hi:[0,1]
	v_mov_b32_e32 v27, v47
	v_pk_add_f32 v[22:23], v[26:27], v[22:23]
	global_store_dwordx2 v[24:25], v[22:23], off
	s_andn2_b64 exec, exec, s[58:59]
	s_cbranch_execz .LBB6_79
.LBB6_74:                               ;   Parent Loop BB6_6 Depth=1
                                        ; =>  This Loop Header: Depth=2
                                        ;       Child Loop BB6_76 Depth 3
	v_mov_b32_e32 v23, 0
	v_mov_b32_e32 v22, 0
	s_and_saveexec_b64 s[60:61], s[10:11]
	s_cbranch_execz .LBB6_73
; %bb.75:                               ;   in Loop: Header=BB6_74 Depth=2
	s_mov_b64 s[62:63], 0
	v_mov_b32_e32 v23, 0
	v_pk_mov_b32 v[24:25], v[20:21], v[20:21] op_sel:[0,1]
	v_pk_mov_b32 v[26:27], v[18:19], v[18:19] op_sel:[0,1]
	v_mov_b32_e32 v29, v2
	v_mov_b32_e32 v22, 0
.LBB6_76:                               ;   Parent Loop BB6_6 Depth=1
                                        ;     Parent Loop BB6_74 Depth=2
                                        ; =>    This Inner Loop Header: Depth=3
	global_load_dwordx2 v[46:47], v[24:25], off
	global_load_dwordx2 v[48:49], v[26:27], off offset:-4
	v_mov_b32_e32 v45, s41
	v_mov_b32_e32 v50, s43
	v_add_co_u32_e32 v24, vcc, s42, v24
	v_add_co_u32_e64 v26, s[12:13], s40, v26
	v_add_u32_e32 v29, -1, v29
	v_addc_co_u32_e64 v27, s[12:13], v27, v45, s[12:13]
	v_addc_co_u32_e32 v25, vcc, v25, v50, vcc
	v_cmp_eq_u32_e32 vcc, 0, v29
	s_or_b64 s[62:63], vcc, s[62:63]
	s_waitcnt vmcnt(0)
	v_mul_f32_e32 v45, v49, v47
	v_mul_f32_e32 v47, v48, v47
	v_fma_f32 v45, v48, v46, -v45
	v_fmac_f32_e32 v47, v49, v46
	v_add_f32_e32 v22, v22, v45
	v_add_f32_e32 v23, v23, v47
	s_andn2_b64 exec, exec, s[62:63]
	s_cbranch_execnz .LBB6_76
; %bb.77:                               ;   in Loop: Header=BB6_74 Depth=2
	s_or_b64 exec, exec, s[62:63]
	s_branch .LBB6_73
.LBB6_78:                               ;   in Loop: Header=BB6_6 Depth=1
                                        ; implicit-def: $sgpr8_sgpr9
                                        ; implicit-def: $vgpr6
                                        ; implicit-def: $vgpr5
	s_cbranch_execnz .LBB6_218
	s_branch .LBB6_221
.LBB6_79:                               ;   in Loop: Header=BB6_6 Depth=1
	s_or_b64 exec, exec, s[56:57]
	s_barrier
	ds_read_b32 v6, v7 offset:2048
	v_mov_b32_e32 v11, 0
	s_waitcnt lgkmcnt(0)
	v_sub_u32_e32 v20, v6, v2
	v_cmp_gt_i32_e32 vcc, v20, v0
	v_bfrev_b32_e32 v6, -2
	s_and_saveexec_b64 s[56:57], vcc
	s_cbranch_execz .LBB6_83
; %bb.80:                               ;   in Loop: Header=BB6_6 Depth=1
	v_lshlrev_b64 v[18:19], 3, v[16:17]
	v_add_co_u32_e32 v6, vcc, v18, v14
	v_addc_co_u32_e32 v11, vcc, v19, v15, vcc
	v_add_co_u32_e32 v18, vcc, v38, v6
	v_addc_co_u32_e32 v19, vcc, v39, v11, vcc
	s_mov_b64 s[58:59], 0
	v_mov_b32_e32 v11, 0
	v_bfrev_b32_e32 v6, -2
	v_mov_b32_e32 v21, v0
.LBB6_81:                               ;   Parent Loop BB6_6 Depth=1
                                        ; =>  This Inner Loop Header: Depth=2
	global_load_dwordx2 v[22:23], v[18:19], off
	v_add_co_u32_e32 v18, vcc, 0x800, v18
	v_cmp_eq_u32_e64 s[10:11], s82, v6
	v_add_u32_e32 v24, 1, v21
	v_add_u32_e32 v21, 0x100, v21
	v_addc_co_u32_e32 v19, vcc, 0, v19, vcc
	v_cmp_ge_i32_e32 vcc, v21, v20
	s_waitcnt vmcnt(0)
	v_cmp_gt_f32_e64 s[12:13], 0, v23
	v_cndmask_b32_e64 v23, v23, -v23, s[12:13]
	v_cmp_gt_f32_e64 s[12:13], 0, v22
	v_cndmask_b32_e64 v22, v22, -v22, s[12:13]
	v_add_f32_e32 v22, v22, v23
	v_cmp_lt_f32_e64 s[12:13], v11, v22
	s_or_b64 s[10:11], s[12:13], s[10:11]
	v_cndmask_b32_e64 v6, v6, v24, s[10:11]
	s_or_b64 s[58:59], vcc, s[58:59]
	v_cndmask_b32_e64 v11, v11, v22, s[10:11]
	s_andn2_b64 exec, exec, s[58:59]
	s_cbranch_execnz .LBB6_81
; %bb.82:                               ;   in Loop: Header=BB6_6 Depth=1
	s_or_b64 exec, exec, s[58:59]
.LBB6_83:                               ;   in Loop: Header=BB6_6 Depth=1
	s_or_b64 exec, exec, s[56:57]
	v_cmp_lt_i32_e32 vcc, 1, v20
	ds_write_b32 v33, v11
	ds_write_b32 v32, v6
	s_waitcnt lgkmcnt(0)
	s_barrier
	s_and_saveexec_b64 s[56:57], vcc
	s_cbranch_execz .LBB6_117
; %bb.84:                               ;   in Loop: Header=BB6_6 Depth=1
	s_and_saveexec_b64 s[12:13], s[2:3]
	s_cbranch_execz .LBB6_90
; %bb.85:                               ;   in Loop: Header=BB6_6 Depth=1
	ds_read_b32 v18, v33 offset:512
	ds_read_b32 v19, v32 offset:512
	s_waitcnt lgkmcnt(1)
	v_cmp_lt_f32_e64 s[58:59], v11, v18
	v_cmp_nlt_f32_e32 vcc, v11, v18
	s_and_saveexec_b64 s[60:61], vcc
	s_cbranch_execz .LBB6_87
; %bb.86:                               ;   in Loop: Header=BB6_6 Depth=1
	v_cmp_eq_f32_e32 vcc, v11, v18
	s_waitcnt lgkmcnt(0)
	v_cmp_gt_i32_e64 s[10:11], v6, v19
	s_and_b64 s[10:11], vcc, s[10:11]
	s_andn2_b64 s[58:59], s[58:59], exec
	s_and_b64 s[10:11], s[10:11], exec
	s_or_b64 s[58:59], s[58:59], s[10:11]
.LBB6_87:                               ;   in Loop: Header=BB6_6 Depth=1
	s_or_b64 exec, exec, s[60:61]
	s_and_saveexec_b64 s[10:11], s[58:59]
	s_cbranch_execz .LBB6_89
; %bb.88:                               ;   in Loop: Header=BB6_6 Depth=1
	v_mov_b32_e32 v11, v18
	s_waitcnt lgkmcnt(0)
	v_mov_b32_e32 v6, v19
	ds_write_b32 v33, v18
	ds_write_b32 v32, v19
.LBB6_89:                               ;   in Loop: Header=BB6_6 Depth=1
	s_or_b64 exec, exec, s[10:11]
.LBB6_90:                               ;   in Loop: Header=BB6_6 Depth=1
	s_or_b64 exec, exec, s[12:13]
	s_waitcnt lgkmcnt(0)
	s_barrier
	s_and_b64 exec, exec, s[4:5]
	s_cbranch_execz .LBB6_117
; %bb.91:                               ;   in Loop: Header=BB6_6 Depth=1
	ds_read_b32 v18, v33 offset:256
	ds_read_b32 v19, v32 offset:256
	s_waitcnt lgkmcnt(1)
	v_cmp_lt_f32_e64 s[12:13], v11, v18
	v_cmp_nlt_f32_e32 vcc, v11, v18
	s_and_saveexec_b64 s[58:59], vcc
	s_cbranch_execz .LBB6_93
; %bb.92:                               ;   in Loop: Header=BB6_6 Depth=1
	v_cmp_eq_f32_e32 vcc, v11, v18
	s_waitcnt lgkmcnt(0)
	v_cmp_gt_i32_e64 s[10:11], v6, v19
	s_and_b64 s[10:11], vcc, s[10:11]
	s_andn2_b64 s[12:13], s[12:13], exec
	s_and_b64 s[10:11], s[10:11], exec
	s_or_b64 s[12:13], s[12:13], s[10:11]
.LBB6_93:                               ;   in Loop: Header=BB6_6 Depth=1
	s_or_b64 exec, exec, s[58:59]
	s_and_saveexec_b64 s[10:11], s[12:13]
	s_cbranch_execz .LBB6_95
; %bb.94:                               ;   in Loop: Header=BB6_6 Depth=1
	s_waitcnt lgkmcnt(0)
	v_mov_b32_e32 v6, v19
	v_mov_b32_e32 v11, v18
	ds_write_b32 v33, v18
	ds_write_b32 v32, v19
.LBB6_95:                               ;   in Loop: Header=BB6_6 Depth=1
	s_or_b64 exec, exec, s[10:11]
	ds_read_b32 v18, v33 offset:128
	s_waitcnt lgkmcnt(1)
	ds_read_b32 v19, v32 offset:128
	s_waitcnt lgkmcnt(1)
	v_cmp_lt_f32_e64 s[12:13], v11, v18
	v_cmp_nlt_f32_e32 vcc, v11, v18
	s_and_saveexec_b64 s[58:59], vcc
	s_cbranch_execz .LBB6_97
; %bb.96:                               ;   in Loop: Header=BB6_6 Depth=1
	v_cmp_eq_f32_e32 vcc, v11, v18
	s_waitcnt lgkmcnt(0)
	v_cmp_gt_i32_e64 s[10:11], v6, v19
	s_and_b64 s[10:11], vcc, s[10:11]
	s_andn2_b64 s[12:13], s[12:13], exec
	s_and_b64 s[10:11], s[10:11], exec
	s_or_b64 s[12:13], s[12:13], s[10:11]
.LBB6_97:                               ;   in Loop: Header=BB6_6 Depth=1
	s_or_b64 exec, exec, s[58:59]
	s_and_saveexec_b64 s[10:11], s[12:13]
	s_cbranch_execz .LBB6_99
; %bb.98:                               ;   in Loop: Header=BB6_6 Depth=1
	s_waitcnt lgkmcnt(0)
	v_mov_b32_e32 v6, v19
	v_mov_b32_e32 v11, v18
	ds_write_b32 v33, v18
	ds_write_b32 v32, v19
.LBB6_99:                               ;   in Loop: Header=BB6_6 Depth=1
	s_or_b64 exec, exec, s[10:11]
	ds_read_b32 v18, v33 offset:64
	s_waitcnt lgkmcnt(1)
	ds_read_b32 v19, v32 offset:64
	s_waitcnt lgkmcnt(1)
	v_cmp_lt_f32_e64 s[12:13], v11, v18
	v_cmp_nlt_f32_e32 vcc, v11, v18
	s_and_saveexec_b64 s[58:59], vcc
	s_cbranch_execz .LBB6_101
; %bb.100:                              ;   in Loop: Header=BB6_6 Depth=1
	v_cmp_eq_f32_e32 vcc, v11, v18
	s_waitcnt lgkmcnt(0)
	v_cmp_gt_i32_e64 s[10:11], v6, v19
	s_and_b64 s[10:11], vcc, s[10:11]
	s_andn2_b64 s[12:13], s[12:13], exec
	s_and_b64 s[10:11], s[10:11], exec
	s_or_b64 s[12:13], s[12:13], s[10:11]
.LBB6_101:                              ;   in Loop: Header=BB6_6 Depth=1
	s_or_b64 exec, exec, s[58:59]
	s_and_saveexec_b64 s[10:11], s[12:13]
	s_cbranch_execz .LBB6_103
; %bb.102:                              ;   in Loop: Header=BB6_6 Depth=1
	s_waitcnt lgkmcnt(0)
	v_mov_b32_e32 v6, v19
	v_mov_b32_e32 v11, v18
	ds_write_b32 v33, v18
	ds_write_b32 v32, v19
.LBB6_103:                              ;   in Loop: Header=BB6_6 Depth=1
	s_or_b64 exec, exec, s[10:11]
	ds_read_b32 v18, v33 offset:32
	s_waitcnt lgkmcnt(1)
	ds_read_b32 v19, v32 offset:32
	s_waitcnt lgkmcnt(1)
	v_cmp_lt_f32_e64 s[12:13], v11, v18
	v_cmp_nlt_f32_e32 vcc, v11, v18
	s_and_saveexec_b64 s[58:59], vcc
	s_cbranch_execz .LBB6_105
; %bb.104:                              ;   in Loop: Header=BB6_6 Depth=1
	v_cmp_eq_f32_e32 vcc, v11, v18
	s_waitcnt lgkmcnt(0)
	v_cmp_gt_i32_e64 s[10:11], v6, v19
	s_and_b64 s[10:11], vcc, s[10:11]
	s_andn2_b64 s[12:13], s[12:13], exec
	s_and_b64 s[10:11], s[10:11], exec
	s_or_b64 s[12:13], s[12:13], s[10:11]
.LBB6_105:                              ;   in Loop: Header=BB6_6 Depth=1
	s_or_b64 exec, exec, s[58:59]
	s_and_saveexec_b64 s[10:11], s[12:13]
	s_cbranch_execz .LBB6_107
; %bb.106:                              ;   in Loop: Header=BB6_6 Depth=1
	s_waitcnt lgkmcnt(0)
	v_mov_b32_e32 v6, v19
	v_mov_b32_e32 v11, v18
	ds_write_b32 v33, v18
	ds_write_b32 v32, v19
.LBB6_107:                              ;   in Loop: Header=BB6_6 Depth=1
	s_or_b64 exec, exec, s[10:11]
	ds_read_b32 v18, v33 offset:16
	s_waitcnt lgkmcnt(1)
	ds_read_b32 v19, v32 offset:16
	s_waitcnt lgkmcnt(1)
	v_cmp_lt_f32_e64 s[12:13], v11, v18
	v_cmp_nlt_f32_e32 vcc, v11, v18
	s_and_saveexec_b64 s[58:59], vcc
	s_cbranch_execz .LBB6_109
; %bb.108:                              ;   in Loop: Header=BB6_6 Depth=1
	v_cmp_eq_f32_e32 vcc, v11, v18
	s_waitcnt lgkmcnt(0)
	v_cmp_gt_i32_e64 s[10:11], v6, v19
	s_and_b64 s[10:11], vcc, s[10:11]
	s_andn2_b64 s[12:13], s[12:13], exec
	s_and_b64 s[10:11], s[10:11], exec
	s_or_b64 s[12:13], s[12:13], s[10:11]
.LBB6_109:                              ;   in Loop: Header=BB6_6 Depth=1
	s_or_b64 exec, exec, s[58:59]
	s_and_saveexec_b64 s[10:11], s[12:13]
	s_cbranch_execz .LBB6_111
; %bb.110:                              ;   in Loop: Header=BB6_6 Depth=1
	s_waitcnt lgkmcnt(0)
	v_mov_b32_e32 v6, v19
	v_mov_b32_e32 v11, v18
	ds_write_b32 v33, v18
	ds_write_b32 v32, v19
.LBB6_111:                              ;   in Loop: Header=BB6_6 Depth=1
	s_or_b64 exec, exec, s[10:11]
	ds_read_b32 v18, v33 offset:8
	s_waitcnt lgkmcnt(1)
	ds_read_b32 v19, v32 offset:8
	s_waitcnt lgkmcnt(1)
	v_cmp_lt_f32_e64 s[12:13], v11, v18
	v_cmp_nlt_f32_e32 vcc, v11, v18
	s_and_saveexec_b64 s[58:59], vcc
	s_cbranch_execz .LBB6_113
; %bb.112:                              ;   in Loop: Header=BB6_6 Depth=1
	v_cmp_eq_f32_e32 vcc, v11, v18
	s_waitcnt lgkmcnt(0)
	v_cmp_gt_i32_e64 s[10:11], v6, v19
	s_and_b64 s[10:11], vcc, s[10:11]
	s_andn2_b64 s[12:13], s[12:13], exec
	s_and_b64 s[10:11], s[10:11], exec
	s_or_b64 s[12:13], s[12:13], s[10:11]
.LBB6_113:                              ;   in Loop: Header=BB6_6 Depth=1
	s_or_b64 exec, exec, s[58:59]
	s_and_saveexec_b64 s[10:11], s[12:13]
	s_cbranch_execz .LBB6_115
; %bb.114:                              ;   in Loop: Header=BB6_6 Depth=1
	s_waitcnt lgkmcnt(0)
	v_mov_b32_e32 v6, v19
	v_mov_b32_e32 v11, v18
	ds_write_b32 v33, v18
	ds_write_b32 v32, v19
.LBB6_115:                              ;   in Loop: Header=BB6_6 Depth=1
	s_or_b64 exec, exec, s[10:11]
	ds_read_b32 v18, v33 offset:4
	s_waitcnt lgkmcnt(1)
	ds_read_b32 v19, v32 offset:4
	s_waitcnt lgkmcnt(1)
	v_cmp_eq_f32_e64 s[10:11], v11, v18
	s_waitcnt lgkmcnt(0)
	v_cmp_gt_i32_e64 s[12:13], v6, v19
	v_cmp_lt_f32_e32 vcc, v11, v18
	s_and_b64 s[10:11], s[10:11], s[12:13]
	s_or_b64 s[10:11], vcc, s[10:11]
	s_and_b64 exec, exec, s[10:11]
	s_cbranch_execz .LBB6_117
; %bb.116:                              ;   in Loop: Header=BB6_6 Depth=1
	ds_write_b32 v33, v18
	ds_write_b32 v32, v19
.LBB6_117:                              ;   in Loop: Header=BB6_6 Depth=1
	s_or_b64 exec, exec, s[56:57]
	s_and_saveexec_b64 s[10:11], s[0:1]
	s_cbranch_execz .LBB6_119
; %bb.118:                              ;   in Loop: Header=BB6_6 Depth=1
	ds_read_b32 v6, v7 offset:1024
	s_waitcnt lgkmcnt(0)
	ds_write_b32 v7, v6 offset:2064
.LBB6_119:                              ;   in Loop: Header=BB6_6 Depth=1
	s_or_b64 exec, exec, s[10:11]
	ds_read_b32 v6, v7 offset:2048
	s_waitcnt lgkmcnt(0)
	v_cmp_le_i32_e32 vcc, s67, v6
	v_readfirstlane_b32 s10, v6
	s_cbranch_vccnz .LBB6_162
; %bb.120:                              ;   in Loop: Header=BB6_6 Depth=1
	s_not_b32 s51, s10
	s_add_i32 s51, s51, s22
	v_cmp_gt_i32_e32 vcc, s51, v0
	v_mov_b32_e32 v11, 0
	v_bfrev_b32_e32 v6, -2
	s_and_saveexec_b64 s[56:57], vcc
	s_cbranch_execz .LBB6_124
; %bb.121:                              ;   in Loop: Header=BB6_6 Depth=1
	s_ashr_i32 s11, s10, 31
	v_lshlrev_b64 v[18:19], 3, v[16:17]
	s_lshl_b64 s[10:11], s[10:11], 3
	v_mov_b32_e32 v6, s11
	v_add_co_u32_e32 v11, vcc, s10, v18
	v_addc_co_u32_e32 v6, vcc, v19, v6, vcc
	v_add_co_u32_e32 v18, vcc, v40, v11
	v_addc_co_u32_e32 v19, vcc, v41, v6, vcc
	s_mov_b64 s[58:59], 0
	v_mov_b32_e32 v11, 0
	v_bfrev_b32_e32 v6, -2
	v_mov_b32_e32 v17, v0
.LBB6_122:                              ;   Parent Loop BB6_6 Depth=1
                                        ; =>  This Inner Loop Header: Depth=2
	global_load_dwordx2 v[20:21], v[18:19], off
	v_add_co_u32_e32 v18, vcc, 0x800, v18
	v_cmp_eq_u32_e64 s[10:11], s82, v6
	v_add_u32_e32 v22, 1, v17
	v_add_u32_e32 v17, 0x100, v17
	v_addc_co_u32_e32 v19, vcc, 0, v19, vcc
	v_cmp_le_i32_e32 vcc, s51, v17
	s_waitcnt vmcnt(0)
	v_cmp_gt_f32_e64 s[12:13], 0, v21
	v_cndmask_b32_e64 v21, v21, -v21, s[12:13]
	v_cmp_gt_f32_e64 s[12:13], 0, v20
	v_cndmask_b32_e64 v20, v20, -v20, s[12:13]
	v_add_f32_e32 v20, v20, v21
	v_cmp_lt_f32_e64 s[12:13], v11, v20
	s_or_b64 s[10:11], s[12:13], s[10:11]
	v_cndmask_b32_e64 v6, v6, v22, s[10:11]
	s_or_b64 s[58:59], vcc, s[58:59]
	v_cndmask_b32_e64 v11, v11, v20, s[10:11]
	s_andn2_b64 exec, exec, s[58:59]
	s_cbranch_execnz .LBB6_122
; %bb.123:                              ;   in Loop: Header=BB6_6 Depth=1
	s_or_b64 exec, exec, s[58:59]
.LBB6_124:                              ;   in Loop: Header=BB6_6 Depth=1
	s_or_b64 exec, exec, s[56:57]
	s_cmp_lt_i32 s51, 2
	ds_write_b32 v33, v11
	ds_write_b32 v32, v6
	s_waitcnt lgkmcnt(0)
	s_barrier
	s_cbranch_scc1 .LBB6_159
; %bb.125:                              ;   in Loop: Header=BB6_6 Depth=1
	s_and_saveexec_b64 s[12:13], s[2:3]
	s_cbranch_execz .LBB6_131
; %bb.126:                              ;   in Loop: Header=BB6_6 Depth=1
	ds_read_b32 v17, v33 offset:512
	ds_read_b32 v18, v32 offset:512
	s_waitcnt lgkmcnt(1)
	v_cmp_lt_f32_e64 s[56:57], v11, v17
	v_cmp_nlt_f32_e32 vcc, v11, v17
	s_and_saveexec_b64 s[58:59], vcc
	s_cbranch_execz .LBB6_128
; %bb.127:                              ;   in Loop: Header=BB6_6 Depth=1
	v_cmp_eq_f32_e32 vcc, v11, v17
	s_waitcnt lgkmcnt(0)
	v_cmp_gt_i32_e64 s[10:11], v6, v18
	s_and_b64 s[10:11], vcc, s[10:11]
	s_andn2_b64 s[56:57], s[56:57], exec
	s_and_b64 s[10:11], s[10:11], exec
	s_or_b64 s[56:57], s[56:57], s[10:11]
.LBB6_128:                              ;   in Loop: Header=BB6_6 Depth=1
	s_or_b64 exec, exec, s[58:59]
	s_and_saveexec_b64 s[10:11], s[56:57]
	s_cbranch_execz .LBB6_130
; %bb.129:                              ;   in Loop: Header=BB6_6 Depth=1
	v_mov_b32_e32 v11, v17
	s_waitcnt lgkmcnt(0)
	v_mov_b32_e32 v6, v18
	ds_write_b32 v33, v17
	ds_write_b32 v32, v18
.LBB6_130:                              ;   in Loop: Header=BB6_6 Depth=1
	s_or_b64 exec, exec, s[10:11]
.LBB6_131:                              ;   in Loop: Header=BB6_6 Depth=1
	s_or_b64 exec, exec, s[12:13]
	s_waitcnt lgkmcnt(0)
	s_barrier
	s_and_saveexec_b64 s[56:57], s[4:5]
	s_cbranch_execz .LBB6_158
; %bb.132:                              ;   in Loop: Header=BB6_6 Depth=1
	ds_read_b32 v17, v33 offset:256
	ds_read_b32 v18, v32 offset:256
	s_waitcnt lgkmcnt(1)
	v_cmp_lt_f32_e64 s[12:13], v11, v17
	v_cmp_nlt_f32_e32 vcc, v11, v17
	s_and_saveexec_b64 s[58:59], vcc
	s_cbranch_execz .LBB6_134
; %bb.133:                              ;   in Loop: Header=BB6_6 Depth=1
	v_cmp_eq_f32_e32 vcc, v11, v17
	s_waitcnt lgkmcnt(0)
	v_cmp_gt_i32_e64 s[10:11], v6, v18
	s_and_b64 s[10:11], vcc, s[10:11]
	s_andn2_b64 s[12:13], s[12:13], exec
	s_and_b64 s[10:11], s[10:11], exec
	s_or_b64 s[12:13], s[12:13], s[10:11]
.LBB6_134:                              ;   in Loop: Header=BB6_6 Depth=1
	s_or_b64 exec, exec, s[58:59]
	s_and_saveexec_b64 s[10:11], s[12:13]
	s_cbranch_execz .LBB6_136
; %bb.135:                              ;   in Loop: Header=BB6_6 Depth=1
	s_waitcnt lgkmcnt(0)
	v_mov_b32_e32 v6, v18
	v_mov_b32_e32 v11, v17
	ds_write_b32 v33, v17
	ds_write_b32 v32, v18
.LBB6_136:                              ;   in Loop: Header=BB6_6 Depth=1
	s_or_b64 exec, exec, s[10:11]
	ds_read_b32 v17, v33 offset:128
	s_waitcnt lgkmcnt(1)
	ds_read_b32 v18, v32 offset:128
	s_waitcnt lgkmcnt(1)
	v_cmp_lt_f32_e64 s[12:13], v11, v17
	v_cmp_nlt_f32_e32 vcc, v11, v17
	s_and_saveexec_b64 s[58:59], vcc
	s_cbranch_execz .LBB6_138
; %bb.137:                              ;   in Loop: Header=BB6_6 Depth=1
	v_cmp_eq_f32_e32 vcc, v11, v17
	s_waitcnt lgkmcnt(0)
	v_cmp_gt_i32_e64 s[10:11], v6, v18
	s_and_b64 s[10:11], vcc, s[10:11]
	s_andn2_b64 s[12:13], s[12:13], exec
	s_and_b64 s[10:11], s[10:11], exec
	s_or_b64 s[12:13], s[12:13], s[10:11]
.LBB6_138:                              ;   in Loop: Header=BB6_6 Depth=1
	s_or_b64 exec, exec, s[58:59]
	s_and_saveexec_b64 s[10:11], s[12:13]
	s_cbranch_execz .LBB6_140
; %bb.139:                              ;   in Loop: Header=BB6_6 Depth=1
	s_waitcnt lgkmcnt(0)
	v_mov_b32_e32 v6, v18
	v_mov_b32_e32 v11, v17
	ds_write_b32 v33, v17
	ds_write_b32 v32, v18
.LBB6_140:                              ;   in Loop: Header=BB6_6 Depth=1
	s_or_b64 exec, exec, s[10:11]
	ds_read_b32 v17, v33 offset:64
	s_waitcnt lgkmcnt(1)
	;; [unrolled: 28-line block ×6, first 2 shown]
	ds_read_b32 v18, v32 offset:4
	s_waitcnt lgkmcnt(1)
	v_cmp_eq_f32_e64 s[10:11], v11, v17
	s_waitcnt lgkmcnt(0)
	v_cmp_gt_i32_e64 s[12:13], v6, v18
	v_cmp_lt_f32_e32 vcc, v11, v17
	s_and_b64 s[10:11], s[10:11], s[12:13]
	s_or_b64 s[10:11], vcc, s[10:11]
	s_and_b64 exec, exec, s[10:11]
	s_cbranch_execz .LBB6_158
; %bb.157:                              ;   in Loop: Header=BB6_6 Depth=1
	ds_write_b32 v33, v17
	ds_write_b32 v32, v18
.LBB6_158:                              ;   in Loop: Header=BB6_6 Depth=1
	s_or_b64 exec, exec, s[56:57]
.LBB6_159:                              ;   in Loop: Header=BB6_6 Depth=1
	s_and_saveexec_b64 s[10:11], s[0:1]
	s_cbranch_execz .LBB6_161
; %bb.160:                              ;   in Loop: Header=BB6_6 Depth=1
	ds_read_b32 v6, v7 offset:2064
	ds_read_b32 v11, v7 offset:1024
	s_waitcnt lgkmcnt(0)
	v_cmp_lt_f32_e32 vcc, v6, v11
	v_cndmask_b32_e32 v6, v6, v11, vcc
	ds_write_b32 v7, v6 offset:2064
.LBB6_161:                              ;   in Loop: Header=BB6_6 Depth=1
	s_or_b64 exec, exec, s[10:11]
.LBB6_162:                              ;   in Loop: Header=BB6_6 Depth=1
	s_waitcnt lgkmcnt(0)
	s_barrier
	ds_read_b64 v[18:19], v7 offset:2056
	ds_read_b32 v11, v7 offset:2064
	s_waitcnt lgkmcnt(1)
	v_mul_f32_e32 v20, 0x3f23f07b, v19
	s_waitcnt lgkmcnt(0)
	v_div_scale_f32 v6, s[10:11], v11, v11, v19
	v_rcp_f32_e32 v17, v6
	v_fma_f32 v21, -v6, v17, 1.0
	v_fmac_f32_e32 v17, v21, v17
	v_div_scale_f32 v21, vcc, v19, v11, v19
	v_mul_f32_e32 v22, v21, v17
	v_fma_f32 v23, -v6, v22, v21
	v_fmac_f32_e32 v22, v23, v17
	v_fma_f32 v6, -v6, v22, v21
	v_div_fmas_f32 v6, v6, v17, v22
	v_div_fixup_f32 v6, v6, v11, v19
	v_mul_f32_e32 v6, v20, v6
	v_cmp_ge_f32_e32 vcc, v18, v6
	s_cbranch_vccnz .LBB6_169
; %bb.163:                              ;   in Loop: Header=BB6_6 Depth=1
	ds_read_b32 v6, v7 offset:2048
	v_mov_b32_e32 v17, s25
	v_mul_f32_e32 v11, 0x3f23f07b, v11
	s_mov_b64 s[10:11], 0
	s_waitcnt lgkmcnt(0)
	v_add_u32_e32 v18, v6, v16
	v_ashrrev_i32_e32 v19, 31, v18
	v_lshlrev_b64 v[18:19], 3, v[18:19]
	v_add_co_u32_e32 v18, vcc, s24, v18
	v_addc_co_u32_e32 v19, vcc, v17, v19, vcc
	global_load_dwordx2 v[18:19], v[18:19], off
	s_waitcnt vmcnt(0)
	v_cmp_gt_f32_e32 vcc, 0, v19
	v_cndmask_b32_e64 v17, v19, -v19, vcc
	v_cmp_gt_f32_e32 vcc, 0, v18
	v_cndmask_b32_e64 v18, v18, -v18, vcc
	v_add_f32_e32 v17, v18, v17
	v_cmp_ge_f32_e32 vcc, v17, v11
	v_mov_b32_e32 v11, 2
	s_and_saveexec_b64 s[12:13], vcc
	s_cbranch_execz .LBB6_168
; %bb.164:                              ;   in Loop: Header=BB6_6 Depth=1
	s_and_saveexec_b64 s[10:11], s[8:9]
	s_cbranch_execz .LBB6_167
; %bb.165:                              ;   in Loop: Header=BB6_6 Depth=1
	v_add3_u32 v18, v0, v10, v2
	v_ashrrev_i32_e32 v19, 31, v18
	v_lshlrev_b64 v[18:19], 3, v[18:19]
	v_add3_u32 v16, v0, v16, v2
	v_mov_b32_e32 v11, s74
	v_add_co_u32_e32 v18, vcc, s73, v18
	v_ashrrev_i32_e32 v17, 31, v16
	v_addc_co_u32_e32 v19, vcc, v11, v19, vcc
	v_lshlrev_b64 v[16:17], 3, v[16:17]
	v_add_co_u32_e32 v16, vcc, s73, v16
	v_addc_co_u32_e32 v17, vcc, v11, v17, vcc
	s_mov_b64 s[8:9], 0
	v_mov_b32_e32 v11, v0
.LBB6_166:                              ;   Parent Loop BB6_6 Depth=1
                                        ; =>  This Inner Loop Header: Depth=2
	global_load_dwordx2 v[20:21], v[16:17], off
	v_add_u32_e32 v11, 0x100, v11
	v_cmp_ge_i32_e32 vcc, v11, v5
	s_or_b64 s[8:9], vcc, s[8:9]
	s_waitcnt vmcnt(0)
	global_store_dwordx2 v[18:19], v[20:21], off
	v_add_co_u32_e32 v18, vcc, 0x800, v18
	v_addc_co_u32_e32 v19, vcc, 0, v19, vcc
	v_add_co_u32_e32 v16, vcc, 0x800, v16
	v_addc_co_u32_e32 v17, vcc, 0, v17, vcc
	s_andn2_b64 exec, exec, s[8:9]
	s_cbranch_execnz .LBB6_166
.LBB6_167:                              ;   in Loop: Header=BB6_6 Depth=1
	s_or_b64 exec, exec, s[10:11]
	s_mov_b64 s[10:11], exec
	v_mov_b32_e32 v11, 1
	s_barrier
.LBB6_168:                              ;   in Loop: Header=BB6_6 Depth=1
	s_or_b64 exec, exec, s[12:13]
	s_branch .LBB6_170
.LBB6_169:                              ;   in Loop: Header=BB6_6 Depth=1
	s_mov_b64 s[10:11], -1
	v_mov_b32_e32 v11, 1
	v_mov_b32_e32 v6, v2
.LBB6_170:                              ;   in Loop: Header=BB6_6 Depth=1
	v_add_u32_e32 v16, v11, v2
	v_add_u32_e32 v5, -1, v16
	v_cmp_ne_u32_e32 vcc, v6, v5
	s_and_saveexec_b64 s[12:13], vcc
	s_cbranch_execz .LBB6_186
; %bb.171:                              ;   in Loop: Header=BB6_6 Depth=1
	s_and_saveexec_b64 s[8:9], s[0:1]
	s_cbranch_execz .LBB6_173
; %bb.172:                              ;   in Loop: Header=BB6_6 Depth=1
	v_mul_lo_u32 v18, v5, s68
	v_ashrrev_i32_e32 v19, 31, v18
	v_lshlrev_b64 v[18:19], 3, v[18:19]
	v_mov_b32_e32 v17, s48
	v_add_co_u32_e32 v18, vcc, s33, v18
	v_addc_co_u32_e32 v19, vcc, v17, v19, vcc
	global_load_dwordx2 v[18:19], v[18:19], off
	v_mul_lo_u32 v20, v6, s68
	v_ashrrev_i32_e32 v21, 31, v20
	v_lshlrev_b64 v[20:21], 3, v[20:21]
	v_add_co_u32_e32 v20, vcc, s33, v20
	v_addc_co_u32_e32 v21, vcc, v17, v21, vcc
	s_waitcnt vmcnt(0)
	global_store_dwordx2 v[20:21], v[18:19], off
.LBB6_173:                              ;   in Loop: Header=BB6_6 Depth=1
	s_or_b64 exec, exec, s[8:9]
	v_sub_u32_e32 v17, v6, v16
	v_cmp_gt_i32_e32 vcc, v17, v0
	s_and_saveexec_b64 s[56:57], vcc
	s_cbranch_execz .LBB6_176
; %bb.174:                              ;   in Loop: Header=BB6_6 Depth=1
	v_add3_u32 v18, v0, v11, v2
	v_mad_u64_u32 v[20:21], s[8:9], v5, s21, v[16:17]
	v_mad_u64_u32 v[18:19], s[8:9], s21, v18, v[6:7]
	s_mov_b64 s[58:59], 0
	v_mov_b32_e32 v21, v0
.LBB6_175:                              ;   Parent Loop BB6_6 Depth=1
                                        ; =>  This Inner Loop Header: Depth=2
	v_add_u32_e32 v22, v20, v21
	v_ashrrev_i32_e32 v23, 31, v22
	v_lshlrev_b64 v[22:23], 3, v[22:23]
	v_mov_b32_e32 v26, s48
	v_add_co_u32_e32 v22, vcc, s33, v22
	v_addc_co_u32_e32 v23, vcc, v26, v23, vcc
	global_load_dwordx2 v[22:23], v[22:23], off
	v_ashrrev_i32_e32 v19, 31, v18
	v_add_u32_e32 v21, 0x100, v21
	v_lshlrev_b64 v[24:25], 3, v[18:19]
	v_cmp_ge_i32_e32 vcc, v21, v17
	v_add_co_u32_e64 v24, s[8:9], s33, v24
	v_add_u32_e32 v18, s79, v18
	v_addc_co_u32_e64 v25, s[8:9], v26, v25, s[8:9]
	s_or_b64 s[58:59], vcc, s[58:59]
	s_waitcnt vmcnt(0)
	global_store_dwordx2 v[24:25], v[22:23], off
	s_andn2_b64 exec, exec, s[58:59]
	s_cbranch_execnz .LBB6_175
.LBB6_176:                              ;   in Loop: Header=BB6_6 Depth=1
	s_or_b64 exec, exec, s[56:57]
	v_xad_u32 v17, v6, -1, s22
	v_cmp_gt_i32_e32 vcc, v17, v0
	s_and_saveexec_b64 s[8:9], vcc
	s_cbranch_execz .LBB6_179
; %bb.177:                              ;   in Loop: Header=BB6_6 Depth=1
	v_mul_lo_u32 v5, v5, s21
	v_mad_u64_u32 v[18:19], s[56:57], s68, v6, 1
	v_add3_u32 v5, v6, v5, 1
	s_mov_b64 s[56:57], 0
	v_mov_b32_e32 v19, v0
.LBB6_178:                              ;   Parent Loop BB6_6 Depth=1
                                        ; =>  This Inner Loop Header: Depth=2
	v_add_u32_e32 v20, v5, v19
	v_ashrrev_i32_e32 v21, 31, v20
	v_lshlrev_b64 v[20:21], 3, v[20:21]
	v_mov_b32_e32 v24, s48
	v_add_co_u32_e32 v20, vcc, s33, v20
	v_addc_co_u32_e32 v21, vcc, v24, v21, vcc
	global_load_dwordx2 v[20:21], v[20:21], off
	v_add_u32_e32 v22, v18, v19
	v_add_u32_e32 v19, 0x100, v19
	v_ashrrev_i32_e32 v23, 31, v22
	v_cmp_ge_i32_e32 vcc, v19, v17
	v_lshlrev_b64 v[22:23], 3, v[22:23]
	s_or_b64 s[56:57], vcc, s[56:57]
	v_add_co_u32_e32 v22, vcc, s33, v22
	v_addc_co_u32_e32 v23, vcc, v24, v23, vcc
	s_waitcnt vmcnt(0)
	global_store_dwordx2 v[22:23], v[20:21], off
	s_andn2_b64 exec, exec, s[56:57]
	s_cbranch_execnz .LBB6_178
.LBB6_179:                              ;   in Loop: Header=BB6_6 Depth=1
	s_or_b64 exec, exec, s[8:9]
	v_cmp_gt_u32_e32 vcc, v2, v0
	s_barrier
	s_and_saveexec_b64 s[8:9], vcc
	s_cbranch_execz .LBB6_182
; %bb.180:                              ;   in Loop: Header=BB6_6 Depth=1
	v_ashrrev_i32_e32 v5, 31, v16
	s_mov_b64 s[56:57], 0
	v_mov_b32_e32 v17, v42
	v_mov_b32_e32 v18, v0
.LBB6_181:                              ;   Parent Loop BB6_6 Depth=1
                                        ; =>  This Inner Loop Header: Depth=2
	v_ashrrev_i32_e32 v19, 31, v17
	v_add_co_u32_e32 v22, vcc, v17, v16
	v_addc_co_u32_e32 v23, vcc, v19, v5, vcc
	v_add_u32_e32 v20, v6, v17
	v_lshlrev_b64 v[22:23], 3, v[22:23]
	v_mov_b32_e32 v24, s72
	v_ashrrev_i32_e32 v21, 31, v20
	v_add_co_u32_e32 v22, vcc, s71, v22
	v_lshlrev_b64 v[20:21], 3, v[20:21]
	v_addc_co_u32_e32 v23, vcc, v24, v23, vcc
	v_mov_b32_e32 v25, s48
	v_add_co_u32_e32 v20, vcc, s33, v20
	v_addc_co_u32_e32 v21, vcc, v25, v21, vcc
	global_load_dwordx2 v[24:25], v[20:21], off
	global_load_dwordx2 v[26:27], v[22:23], off
	v_add_u32_e32 v18, 0x100, v18
	v_cmp_ge_u32_e32 vcc, v18, v2
	v_add_u32_e32 v17, s79, v17
	s_or_b64 s[56:57], vcc, s[56:57]
	s_waitcnt vmcnt(1)
	global_store_dwordx2 v[22:23], v[24:25], off
	s_waitcnt vmcnt(1)
	global_store_dwordx2 v[20:21], v[26:27], off
	s_andn2_b64 exec, exec, s[56:57]
	s_cbranch_execnz .LBB6_181
.LBB6_182:                              ;   in Loop: Header=BB6_6 Depth=1
	s_or_b64 exec, exec, s[8:9]
	v_cmp_gt_u32_e32 vcc, v16, v0
	s_and_b64 exec, exec, vcc
	s_cbranch_execz .LBB6_185
; %bb.183:                              ;   in Loop: Header=BB6_6 Depth=1
	v_add_co_u32_e32 v5, vcc, v4, v11
	v_addc_co_u32_e32 v11, vcc, 0, v1, vcc
	v_add_co_u32_e32 v18, vcc, v5, v2
	v_addc_co_u32_e32 v19, vcc, 0, v11, vcc
	v_lshlrev_b64 v[18:19], 3, v[18:19]
	v_add_co_u32_e32 v5, vcc, -8, v18
	v_add_u32_e32 v18, v4, v6
	v_addc_co_u32_e32 v11, vcc, -1, v19, vcc
	v_ashrrev_i32_e32 v19, 31, v18
	v_lshlrev_b64 v[18:19], 3, v[18:19]
	s_mov_b64 s[56:57], 0
	s_mov_b64 s[58:59], s[24:25]
	v_mov_b32_e32 v17, v0
.LBB6_184:                              ;   Parent Loop BB6_6 Depth=1
                                        ; =>  This Inner Loop Header: Depth=2
	v_mov_b32_e32 v21, s59
	v_add_co_u32_e32 v20, vcc, s58, v18
	v_add_co_u32_e64 v22, s[8:9], s58, v5
	v_addc_co_u32_e64 v23, s[8:9], v21, v11, s[8:9]
	v_addc_co_u32_e32 v21, vcc, v21, v19, vcc
	global_load_dwordx2 v[24:25], v[20:21], off
	global_load_dwordx2 v[26:27], v[22:23], off
	v_add_u32_e32 v17, 0x100, v17
	s_add_u32 s58, s58, s44
	s_addc_u32 s59, s59, s45
	v_cmp_ge_u32_e32 vcc, v17, v16
	s_or_b64 s[56:57], vcc, s[56:57]
	s_waitcnt vmcnt(1)
	global_store_dwordx2 v[22:23], v[24:25], off
	s_waitcnt vmcnt(1)
	global_store_dwordx2 v[20:21], v[26:27], off
	s_andn2_b64 exec, exec, s[56:57]
	s_cbranch_execnz .LBB6_184
.LBB6_185:                              ;   in Loop: Header=BB6_6 Depth=1
	s_barrier
.LBB6_186:                              ;   in Loop: Header=BB6_6 Depth=1
	s_or_b64 exec, exec, s[12:13]
	s_xor_b64 s[10:11], s[10:11], -1
                                        ; implicit-def: $sgpr12
                                        ; implicit-def: $sgpr8_sgpr9
	s_and_saveexec_b64 s[56:57], s[10:11]
	s_xor_b64 s[10:11], exec, s[56:57]
	s_cbranch_execz .LBB6_206
; %bb.187:                              ;   in Loop: Header=BB6_6 Depth=1
	v_cmp_gt_i32_e32 vcc, s69, v2
	v_add_u32_e32 v16, v10, v44
	s_and_saveexec_b64 s[12:13], vcc
	s_cbranch_execz .LBB6_203
; %bb.188:                              ;   in Loop: Header=BB6_6 Depth=1
	v_ashrrev_i32_e32 v17, 31, v16
	v_lshlrev_b64 v[18:19], 3, v[16:17]
	v_mov_b32_e32 v5, s25
	v_add_co_u32_e32 v18, vcc, s24, v18
	v_addc_co_u32_e32 v19, vcc, v5, v19, vcc
	v_mul_lo_u32 v5, v44, s22
	global_load_dwordx2 v[22:23], v[18:19], off
	v_add_u32_e32 v18, v5, v44
	v_ashrrev_i32_e32 v19, 31, v18
	v_lshlrev_b64 v[18:19], 3, v[18:19]
	v_mov_b32_e32 v9, s25
	v_add_co_u32_e32 v18, vcc, s24, v18
	v_addc_co_u32_e32 v19, vcc, v9, v19, vcc
	global_load_dwordx2 v[18:19], v[18:19], off
	s_waitcnt vmcnt(1)
	v_cmp_gt_f32_e32 vcc, 0, v22
	v_cndmask_b32_e64 v9, v22, -v22, vcc
	v_cmp_gt_f32_e32 vcc, 0, v23
	v_cndmask_b32_e64 v11, v23, -v23, vcc
	v_cmp_ngt_f32_e64 s[8:9], v9, v11
	s_waitcnt vmcnt(0)
	v_mov_b32_e32 v20, v19
	v_mov_b32_e32 v21, v18
                                        ; implicit-def: $vgpr18_vgpr19
	s_and_saveexec_b64 s[56:57], s[8:9]
	s_xor_b64 s[56:57], exec, s[56:57]
	s_cbranch_execz .LBB6_190
; %bb.189:                              ;   in Loop: Header=BB6_6 Depth=1
	v_div_scale_f32 v9, s[58:59], v23, v23, v22
	v_rcp_f32_e32 v11, v9
	v_div_scale_f32 v17, vcc, v22, v23, v22
	v_fma_f32 v18, -v9, v11, 1.0
	v_fmac_f32_e32 v11, v18, v11
	v_mul_f32_e32 v18, v17, v11
	v_fma_f32 v19, -v9, v18, v17
	v_fmac_f32_e32 v18, v19, v11
	v_fma_f32 v9, -v9, v18, v17
	v_div_fmas_f32 v9, v9, v11, v18
	v_div_fixup_f32 v18, v9, v23, v22
	v_fma_f32 v9, v22, v18, v23
	v_div_scale_f32 v11, s[58:59], v9, v9, 1.0
	v_rcp_f32_e32 v17, v11
	v_fma_f32 v19, -v11, v17, 1.0
	v_fmac_f32_e32 v17, v19, v17
	v_div_scale_f32 v19, vcc, 1.0, v9, 1.0
	v_mul_f32_e32 v24, v19, v17
	v_fma_f32 v25, -v11, v24, v19
	v_fmac_f32_e32 v24, v25, v17
	v_fma_f32 v11, -v11, v24, v19
	v_div_fmas_f32 v11, v11, v17, v24
	v_pk_fma_f32 v[26:27], v[18:19], v[20:21], v[20:21] op_sel:[0,0,1] op_sel_hi:[0,1,0]
	v_pk_fma_f32 v[18:19], v[18:19], v[20:21], v[20:21] op_sel:[0,0,1] op_sel_hi:[0,1,0] neg_lo:[0,0,1] neg_hi:[0,0,1]
	v_div_fixup_f32 v24, v11, v9, 1.0
	v_mov_b32_e32 v19, v27
	v_pk_mul_f32 v[18:19], v[24:25], v[18:19] op_sel_hi:[0,1]
                                        ; implicit-def: $vgpr20_vgpr21
.LBB6_190:                              ;   in Loop: Header=BB6_6 Depth=1
	s_andn2_saveexec_b64 s[56:57], s[56:57]
	s_cbranch_execz .LBB6_192
; %bb.191:                              ;   in Loop: Header=BB6_6 Depth=1
	v_div_scale_f32 v9, s[58:59], v22, v22, v23
	v_rcp_f32_e32 v11, v9
	v_div_scale_f32 v17, vcc, v23, v22, v23
	v_fma_f32 v18, -v9, v11, 1.0
	v_fmac_f32_e32 v11, v18, v11
	v_mul_f32_e32 v18, v17, v11
	v_fma_f32 v19, -v9, v18, v17
	v_fmac_f32_e32 v18, v19, v11
	v_fma_f32 v9, -v9, v18, v17
	v_div_fmas_f32 v9, v9, v11, v18
	v_div_fixup_f32 v18, v9, v22, v23
	v_fma_f32 v9, v23, v18, v22
	v_div_scale_f32 v11, s[58:59], v9, v9, 1.0
	v_rcp_f32_e32 v17, v11
	v_fma_f32 v19, -v11, v17, 1.0
	v_fmac_f32_e32 v17, v19, v17
	v_div_scale_f32 v19, vcc, 1.0, v9, 1.0
	v_mul_f32_e32 v24, v19, v17
	v_fma_f32 v25, -v11, v24, v19
	v_fmac_f32_e32 v24, v25, v17
	v_fma_f32 v11, -v11, v24, v19
	v_pk_mul_f32 v[18:19], v[18:19], v[20:21] op_sel_hi:[0,1]
	v_div_fmas_f32 v11, v11, v17, v24
	v_pk_add_f32 v[26:27], v[18:19], v[20:21] op_sel:[1,0] op_sel_hi:[0,1]
	v_pk_add_f32 v[18:19], v[20:21], v[18:19] op_sel:[0,1] op_sel_hi:[1,0] neg_lo:[0,1] neg_hi:[0,1]
	v_div_fixup_f32 v24, v11, v9, 1.0
	v_mov_b32_e32 v19, v27
	v_pk_mul_f32 v[18:19], v[24:25], v[18:19] op_sel_hi:[0,1]
.LBB6_192:                              ;   in Loop: Header=BB6_6 Depth=1
	s_or_b64 exec, exec, s[56:57]
	global_load_dwordx2 v[20:21], v[12:13], off
	s_waitcnt vmcnt(0)
	v_mov_b32_e32 v24, v21
	v_mov_b32_e32 v25, v20
                                        ; implicit-def: $vgpr20_vgpr21
	s_and_saveexec_b64 s[56:57], s[8:9]
	s_xor_b64 s[8:9], exec, s[56:57]
	s_cbranch_execz .LBB6_194
; %bb.193:                              ;   in Loop: Header=BB6_6 Depth=1
	v_div_scale_f32 v9, s[56:57], v23, v23, v22
	v_rcp_f32_e32 v11, v9
	v_div_scale_f32 v17, vcc, v22, v23, v22
	v_fma_f32 v20, -v9, v11, 1.0
	v_fmac_f32_e32 v11, v20, v11
	v_mul_f32_e32 v20, v17, v11
	v_fma_f32 v21, -v9, v20, v17
	v_fmac_f32_e32 v20, v21, v11
	v_fma_f32 v9, -v9, v20, v17
	v_div_fmas_f32 v9, v9, v11, v20
	v_div_fixup_f32 v20, v9, v23, v22
	v_fma_f32 v9, v22, v20, v23
	v_div_scale_f32 v11, s[56:57], v9, v9, 1.0
	v_rcp_f32_e32 v17, v11
	v_fma_f32 v21, -v11, v17, 1.0
	v_fmac_f32_e32 v17, v21, v17
	v_div_scale_f32 v21, vcc, 1.0, v9, 1.0
	v_mul_f32_e32 v26, v21, v17
	v_fma_f32 v27, -v11, v26, v21
	v_fmac_f32_e32 v26, v27, v17
	v_fma_f32 v11, -v11, v26, v21
	v_div_fmas_f32 v11, v11, v17, v26
	v_pk_fma_f32 v[28:29], v[20:21], v[24:25], v[24:25] op_sel:[0,0,1] op_sel_hi:[1,1,0] neg_lo:[0,0,1] neg_hi:[0,0,1]
	v_pk_fma_f32 v[20:21], v[20:21], v[24:25], v[24:25] op_sel:[0,0,1] op_sel_hi:[0,1,0]
	v_div_fixup_f32 v26, v11, v9, 1.0
	v_mov_b32_e32 v29, v21
	v_pk_mul_f32 v[20:21], v[26:27], v[28:29] op_sel_hi:[0,1]
                                        ; implicit-def: $vgpr24_vgpr25
.LBB6_194:                              ;   in Loop: Header=BB6_6 Depth=1
	s_andn2_saveexec_b64 s[8:9], s[8:9]
	s_cbranch_execz .LBB6_196
; %bb.195:                              ;   in Loop: Header=BB6_6 Depth=1
	v_div_scale_f32 v9, s[56:57], v22, v22, v23
	v_rcp_f32_e32 v11, v9
	v_div_scale_f32 v17, vcc, v23, v22, v23
	v_fma_f32 v20, -v9, v11, 1.0
	v_fmac_f32_e32 v11, v20, v11
	v_mul_f32_e32 v20, v17, v11
	v_fma_f32 v21, -v9, v20, v17
	v_fmac_f32_e32 v20, v21, v11
	v_fma_f32 v9, -v9, v20, v17
	v_div_fmas_f32 v9, v9, v11, v20
	v_div_fixup_f32 v20, v9, v22, v23
	v_fma_f32 v9, v23, v20, v22
	v_div_scale_f32 v11, s[56:57], v9, v9, 1.0
	v_rcp_f32_e32 v17, v11
	v_fma_f32 v21, -v11, v17, 1.0
	v_fmac_f32_e32 v17, v21, v17
	v_div_scale_f32 v21, vcc, 1.0, v9, 1.0
	v_mul_f32_e32 v26, v21, v17
	v_fma_f32 v27, -v11, v26, v21
	v_fmac_f32_e32 v26, v27, v17
	v_fma_f32 v11, -v11, v26, v21
	v_pk_mul_f32 v[20:21], v[20:21], v[24:25] op_sel_hi:[0,1]
	v_div_fmas_f32 v11, v11, v17, v26
	v_pk_add_f32 v[28:29], v[24:25], v[20:21] op_sel:[0,1] op_sel_hi:[1,0] neg_lo:[0,1] neg_hi:[0,1]
	v_pk_add_f32 v[20:21], v[20:21], v[24:25] op_sel:[1,0] op_sel_hi:[0,1]
	v_div_fixup_f32 v26, v11, v9, 1.0
	v_mov_b32_e32 v29, v21
	v_pk_mul_f32 v[20:21], v[26:27], v[28:29] op_sel_hi:[0,1]
.LBB6_196:                              ;   in Loop: Header=BB6_6 Depth=1
	s_or_b64 exec, exec, s[8:9]
	v_pk_mul_f32 v[24:25], v[18:19], v[20:21]
	v_mov_b32_e32 v9, v18
	v_mov_b32_e32 v24, v25
	v_pk_mul_f32 v[26:27], v[8:9], v[20:21]
	v_mov_b32_e32 v9, v20
	v_pk_fma_f32 v[24:25], v[18:19], v[20:21], v[24:25] neg_lo:[1,0,0] neg_hi:[1,0,0]
	v_pk_mul_f32 v[28:29], v[18:19], v[8:9]
	v_mov_b32_e32 v25, v29
	v_mov_b32_e32 v9, v27
	v_pk_add_f32 v[24:25], v[24:25], v[8:9]
	v_pk_mul_f32 v[26:27], v[22:23], v[24:25]
	v_sub_f32_e32 v9, v26, v27
	v_mul_f32_e32 v11, v22, v25
	v_fmac_f32_e32 v11, v23, v24
	v_cmp_gt_f32_e32 vcc, 0, v9
	v_cndmask_b32_e64 v17, v9, -v9, vcc
	v_cmp_gt_f32_e32 vcc, 0, v11
	v_cndmask_b32_e64 v22, v11, -v11, vcc
	v_cmp_ngt_f32_e32 vcc, v17, v22
                                        ; implicit-def: $vgpr22_vgpr23
	s_and_saveexec_b64 s[8:9], vcc
	s_xor_b64 s[8:9], exec, s[8:9]
	s_cbranch_execz .LBB6_198
; %bb.197:                              ;   in Loop: Header=BB6_6 Depth=1
	v_div_scale_f32 v17, s[56:57], v11, v11, v9
	v_rcp_f32_e32 v22, v17
	v_div_scale_f32 v23, vcc, v9, v11, v9
	s_mov_b32 s51, s20
	v_fma_f32 v24, -v17, v22, 1.0
	v_fmac_f32_e32 v22, v24, v22
	v_mul_f32_e32 v24, v23, v22
	v_fma_f32 v25, -v17, v24, v23
	v_fmac_f32_e32 v24, v25, v22
	v_fma_f32 v17, -v17, v24, v23
	v_div_fmas_f32 v17, v17, v22, v24
	v_div_fixup_f32 v23, v17, v11, v9
	v_fmac_f32_e32 v11, v9, v23
	v_div_scale_f32 v9, s[56:57], v11, v11, 1.0
	v_rcp_f32_e32 v17, v9
	v_fma_f32 v22, -v9, v17, 1.0
	v_fmac_f32_e32 v17, v22, v17
	v_div_scale_f32 v22, vcc, 1.0, v11, 1.0
	v_mul_f32_e32 v24, v22, v17
	v_fma_f32 v25, -v9, v24, v22
	v_fmac_f32_e32 v24, v25, v17
	v_fma_f32 v9, -v9, v24, v22
	v_div_fmas_f32 v9, v9, v17, v24
	v_mul_f32_e32 v22, 0, v23
	v_div_fixup_f32 v24, v9, v11, 1.0
	v_pk_add_f32 v[22:23], v[22:23], s[50:51]
	v_pk_mul_f32 v[22:23], v[22:23], v[24:25] op_sel_hi:[1,0]
                                        ; implicit-def: $vgpr9
                                        ; implicit-def: $vgpr11
.LBB6_198:                              ;   in Loop: Header=BB6_6 Depth=1
	s_andn2_saveexec_b64 s[8:9], s[8:9]
	s_cbranch_execz .LBB6_200
; %bb.199:                              ;   in Loop: Header=BB6_6 Depth=1
	v_div_scale_f32 v17, s[56:57], v9, v9, v11
	v_rcp_f32_e32 v22, v17
	v_div_scale_f32 v23, vcc, v11, v9, v11
	v_fma_f32 v24, -v17, v22, 1.0
	v_fmac_f32_e32 v22, v24, v22
	v_mul_f32_e32 v24, v23, v22
	v_fma_f32 v25, -v17, v24, v23
	v_fmac_f32_e32 v24, v25, v22
	v_fma_f32 v17, -v17, v24, v23
	v_div_fmas_f32 v17, v17, v22, v24
	v_div_fixup_f32 v22, v17, v9, v11
	v_fmac_f32_e32 v9, v11, v22
	v_div_scale_f32 v11, s[56:57], v9, v9, 1.0
	v_rcp_f32_e32 v17, v11
	v_fma_f32 v23, -v11, v17, 1.0
	v_fmac_f32_e32 v17, v23, v17
	v_div_scale_f32 v23, vcc, 1.0, v9, 1.0
	v_mul_f32_e32 v24, v23, v17
	v_fma_f32 v25, -v11, v24, v23
	v_fmac_f32_e32 v24, v25, v17
	v_fma_f32 v11, -v11, v24, v23
	v_mul_f32_e32 v23, 0, v22
	v_div_fmas_f32 v11, v11, v17, v24
	v_pk_add_f32 v[26:27], v[22:23], s[20:21] neg_lo:[1,0] neg_hi:[1,0]
	v_pk_add_f32 v[22:23], v[22:23], s[48:49]
	v_div_fixup_f32 v24, v11, v9, 1.0
	v_mov_b32_e32 v27, v23
	v_pk_mul_f32 v[22:23], v[26:27], v[24:25] op_sel_hi:[1,0]
.LBB6_200:                              ;   in Loop: Header=BB6_6 Depth=1
	s_or_b64 exec, exec, s[8:9]
	v_add_u32_e32 v9, v2, v34
	v_cmp_gt_i32_e32 vcc, s22, v9
	s_and_b64 exec, exec, vcc
	s_cbranch_execz .LBB6_203
; %bb.201:                              ;   in Loop: Header=BB6_6 Depth=1
	v_add3_u32 v10, v34, v10, v2
	v_mul_lo_u32 v17, s68, v2
	v_ashrrev_i32_e32 v11, 31, v10
	v_lshlrev_b64 v[10:11], 3, v[10:11]
	v_add_u32_e32 v26, v34, v17
	v_mov_b32_e32 v25, s78
	v_add_co_u32_e32 v10, vcc, s77, v10
	v_ashrrev_i32_e32 v27, 31, v26
	v_addc_co_u32_e32 v11, vcc, v25, v11, vcc
	v_lshlrev_b64 v[26:27], 3, v[26:27]
	v_add_u32_e32 v28, v9, v5
	v_add_u32_e32 v24, v43, v17
	v_mov_b32_e32 v17, s81
	v_add_co_u32_e32 v26, vcc, s80, v26
	v_ashrrev_i32_e32 v29, 31, v28
	v_addc_co_u32_e32 v27, vcc, v17, v27, vcc
	v_lshlrev_b64 v[28:29], 3, v[28:29]
	v_mov_b32_e32 v5, s78
	v_add_co_u32_e32 v28, vcc, s77, v28
	v_addc_co_u32_e32 v29, vcc, v5, v29, vcc
	s_mov_b64 s[56:57], 0
.LBB6_202:                              ;   Parent Loop BB6_6 Depth=1
                                        ; =>  This Inner Loop Header: Depth=2
	global_load_dwordx2 v[46:47], v[10:11], off offset:-4
	global_load_dwordx2 v[48:49], v[28:29], off offset:-4
	v_add_u32_e32 v9, 0x100, v9
	v_cmp_le_i32_e32 vcc, s22, v9
	s_or_b64 s[56:57], vcc, s[56:57]
	s_waitcnt vmcnt(1)
	v_mul_f32_e32 v5, v18, v47
	v_mul_f32_e32 v17, v19, v47
	v_fma_f32 v5, v19, v46, -v5
	v_fmac_f32_e32 v17, v18, v46
	s_waitcnt vmcnt(0)
	v_sub_f32_e32 v5, v5, v48
	v_sub_f32_e32 v17, v17, v49
	v_mul_f32_e32 v25, v22, v17
	v_mul_f32_e32 v47, v22, v5
	v_fma_f32 v46, v23, v5, -v25
	v_fmac_f32_e32 v47, v23, v17
	global_store_dwordx2 v[26:27], v[46:47], off offset:-4
	global_load_dwordx2 v[46:47], v[28:29], off offset:-4
	s_nop 0
	global_load_dwordx2 v[48:49], v[10:11], off offset:-4
	v_ashrrev_i32_e32 v25, 31, v24
	v_lshlrev_b64 v[50:51], 3, v[24:25]
	v_mov_b32_e32 v5, s48
	v_add_co_u32_e64 v50, s[8:9], s33, v50
	v_add_co_u32_e32 v10, vcc, s83, v10
	v_addc_co_u32_e64 v51, s[8:9], v5, v51, s[8:9]
	v_addc_co_u32_e32 v11, vcc, 0, v11, vcc
	v_add_co_u32_e32 v26, vcc, 0x800, v26
	v_addc_co_u32_e32 v27, vcc, 0, v27, vcc
	v_add_co_u32_e32 v28, vcc, 0x800, v28
	v_add_u32_e32 v24, 0x100, v24
	v_addc_co_u32_e32 v29, vcc, 0, v29, vcc
	s_waitcnt vmcnt(1)
	v_mul_f32_e32 v5, v20, v47
	v_mul_f32_e32 v17, v21, v47
	v_fma_f32 v5, v21, v46, -v5
	v_fmac_f32_e32 v17, v20, v46
	s_waitcnt vmcnt(0)
	v_sub_f32_e32 v5, v5, v48
	v_sub_f32_e32 v17, v17, v49
	v_mul_f32_e32 v25, v22, v17
	v_mul_f32_e32 v47, v22, v5
	v_fma_f32 v46, v23, v5, -v25
	v_fmac_f32_e32 v47, v23, v17
	global_store_dwordx2 v[50:51], v[46:47], off
	s_andn2_b64 exec, exec, s[56:57]
	s_cbranch_execnz .LBB6_202
.LBB6_203:                              ;   in Loop: Header=BB6_6 Depth=1
	s_or_b64 exec, exec, s[12:13]
	s_and_saveexec_b64 s[8:9], s[0:1]
	s_cbranch_execz .LBB6_205
; %bb.204:                              ;   in Loop: Header=BB6_6 Depth=1
	global_load_dwordx2 v[10:11], v[12:13], off
	v_mov_b32_e32 v5, s48
	v_ashrrev_i32_e32 v17, 31, v16
	v_add_co_u32_e32 v18, vcc, s33, v14
	v_mul_lo_u32 v12, v2, s21
	v_addc_co_u32_e32 v19, vcc, v5, v15, vcc
	v_lshlrev_b64 v[14:15], 3, v[16:17]
	v_mov_b32_e32 v9, s25
	v_ashrrev_i32_e32 v13, 31, v12
	v_add_co_u32_e32 v14, vcc, s24, v14
	v_lshlrev_b64 v[16:17], 3, v[12:13]
	v_addc_co_u32_e32 v15, vcc, v9, v15, vcc
	v_add_co_u32_e32 v16, vcc, v18, v16
	v_addc_co_u32_e32 v17, vcc, v19, v17, vcc
	v_add_u32_e32 v12, v44, v12
	v_ashrrev_i32_e32 v13, 31, v12
	v_lshlrev_b64 v[12:13], 3, v[12:13]
	v_add_co_u32_e32 v12, vcc, s33, v12
	v_addc_co_u32_e32 v13, vcc, v5, v13, vcc
	s_waitcnt vmcnt(0)
	global_store_dwordx2 v[16:17], v[10:11], off
	global_load_dwordx2 v[10:11], v[14:15], off
	v_mul_lo_u32 v14, v44, s70
	v_ashrrev_i32_e32 v15, 31, v14
	v_lshlrev_b64 v[14:15], 3, v[14:15]
	s_waitcnt vmcnt(0)
	global_store_dwordx2 v[12:13], v[10:11], off
	v_add_co_u32_e32 v10, vcc, s24, v14
	v_addc_co_u32_e32 v11, vcc, v9, v15, vcc
	global_load_dwordx2 v[10:11], v[10:11], off
	v_mul_lo_u32 v12, v44, s68
	v_ashrrev_i32_e32 v13, 31, v12
	v_lshlrev_b64 v[12:13], 3, v[12:13]
	v_add_co_u32_e32 v12, vcc, s33, v12
	v_addc_co_u32_e32 v13, vcc, v5, v13, vcc
	s_waitcnt vmcnt(0)
	global_store_dwordx2 v[12:13], v[10:11], off
.LBB6_205:                              ;   in Loop: Header=BB6_6 Depth=1
	s_or_b64 exec, exec, s[8:9]
	s_mov_b64 s[8:9], 0
	s_mov_b32 s12, 2
	s_barrier
	s_waitcnt lgkmcnt(0)
                                        ; implicit-def: $vgpr9
                                        ; implicit-def: $vgpr10_vgpr11
                                        ; implicit-def: $vgpr12_vgpr13
.LBB6_206:                              ;   in Loop: Header=BB6_6 Depth=1
	s_or_saveexec_b64 s[10:11], s[10:11]
	v_mov_b32_e32 v5, s12
	s_xor_b64 exec, exec, s[10:11]
	s_cbranch_execz .LBB6_217
; %bb.207:                              ;   in Loop: Header=BB6_6 Depth=1
	global_load_dwordx2 v[12:13], v[12:13], off
                                        ; implicit-def: $vgpr14_vgpr15
	s_waitcnt vmcnt(0)
	v_cmp_gt_f32_e32 vcc, 0, v13
	v_cndmask_b32_e64 v5, v13, -v13, vcc
	v_cmp_gt_f32_e32 vcc, 0, v12
	v_cndmask_b32_e64 v11, v12, -v12, vcc
	v_cmp_ngt_f32_e32 vcc, v11, v5
	s_and_saveexec_b64 s[12:13], vcc
	s_xor_b64 s[12:13], exec, s[12:13]
	s_cbranch_execnz .LBB6_211
; %bb.208:                              ;   in Loop: Header=BB6_6 Depth=1
	s_andn2_saveexec_b64 s[12:13], s[12:13]
	s_cbranch_execnz .LBB6_212
.LBB6_209:                              ;   in Loop: Header=BB6_6 Depth=1
	s_or_b64 exec, exec, s[12:13]
	s_and_saveexec_b64 s[12:13], s[0:1]
	s_cbranch_execnz .LBB6_213
.LBB6_210:                              ;   in Loop: Header=BB6_6 Depth=1
	s_or_b64 exec, exec, s[12:13]
	s_and_saveexec_b64 s[12:13], s[6:7]
	s_cbranch_execnz .LBB6_214
	s_branch .LBB6_216
.LBB6_211:                              ;   in Loop: Header=BB6_6 Depth=1
	v_div_scale_f32 v5, s[56:57], v13, v13, v12
	v_rcp_f32_e32 v11, v5
	v_div_scale_f32 v14, vcc, v12, v13, v12
	s_mov_b32 s51, s20
	v_fma_f32 v15, -v5, v11, 1.0
	v_fmac_f32_e32 v11, v15, v11
	v_mul_f32_e32 v15, v14, v11
	v_fma_f32 v16, -v5, v15, v14
	v_fmac_f32_e32 v15, v16, v11
	v_fma_f32 v5, -v5, v15, v14
	v_div_fmas_f32 v5, v5, v11, v15
	v_div_fixup_f32 v15, v5, v13, v12
	v_fma_f32 v5, v12, v15, v13
	v_div_scale_f32 v11, s[56:57], v5, v5, 1.0
	v_rcp_f32_e32 v14, v11
	v_fma_f32 v16, -v11, v14, 1.0
	v_fmac_f32_e32 v14, v16, v14
	v_div_scale_f32 v16, vcc, 1.0, v5, 1.0
	v_mul_f32_e32 v17, v16, v14
	v_fma_f32 v18, -v11, v17, v16
	v_fmac_f32_e32 v17, v18, v14
	v_fma_f32 v11, -v11, v17, v16
	v_div_fmas_f32 v11, v11, v14, v17
	v_mul_f32_e32 v14, 0, v15
	v_div_fixup_f32 v16, v11, v5, 1.0
	v_pk_add_f32 v[14:15], v[14:15], s[50:51]
	v_pk_mul_f32 v[14:15], v[14:15], v[16:17] op_sel_hi:[1,0]
	s_andn2_saveexec_b64 s[12:13], s[12:13]
	s_cbranch_execz .LBB6_209
.LBB6_212:                              ;   in Loop: Header=BB6_6 Depth=1
	v_div_scale_f32 v5, s[56:57], v12, v12, v13
	v_rcp_f32_e32 v11, v5
	v_div_scale_f32 v14, vcc, v13, v12, v13
	v_fma_f32 v15, -v5, v11, 1.0
	v_fmac_f32_e32 v11, v15, v11
	v_mul_f32_e32 v15, v14, v11
	v_fma_f32 v16, -v5, v15, v14
	v_fmac_f32_e32 v15, v16, v11
	v_fma_f32 v5, -v5, v15, v14
	v_div_fmas_f32 v5, v5, v11, v15
	v_div_fixup_f32 v14, v5, v12, v13
	v_fma_f32 v5, v13, v14, v12
	v_div_scale_f32 v11, s[56:57], v5, v5, 1.0
	v_rcp_f32_e32 v15, v11
	v_fma_f32 v16, -v11, v15, 1.0
	v_fmac_f32_e32 v15, v16, v15
	v_div_scale_f32 v16, vcc, 1.0, v5, 1.0
	v_mul_f32_e32 v17, v16, v15
	v_fma_f32 v18, -v11, v17, v16
	v_fmac_f32_e32 v17, v18, v15
	v_fma_f32 v11, -v11, v17, v16
	v_div_fmas_f32 v11, v11, v15, v17
	v_mul_f32_e32 v15, 0, v14
	v_pk_add_f32 v[18:19], v[14:15], s[20:21] neg_lo:[1,0] neg_hi:[1,0]
	v_pk_add_f32 v[14:15], v[14:15], s[48:49]
	v_div_fixup_f32 v16, v11, v5, 1.0
	v_mov_b32_e32 v19, v15
	v_pk_mul_f32 v[14:15], v[18:19], v[16:17] op_sel_hi:[1,0]
	s_or_b64 exec, exec, s[12:13]
	s_and_saveexec_b64 s[12:13], s[0:1]
	s_cbranch_execz .LBB6_210
.LBB6_213:                              ;   in Loop: Header=BB6_6 Depth=1
	v_mul_lo_u32 v16, v2, s68
	v_ashrrev_i32_e32 v17, 31, v16
	v_lshlrev_b64 v[16:17], 3, v[16:17]
	v_mov_b32_e32 v5, s48
	v_add_co_u32_e32 v16, vcc, s33, v16
	v_addc_co_u32_e32 v17, vcc, v5, v17, vcc
	global_store_dwordx2 v[16:17], v[12:13], off
	s_or_b64 exec, exec, s[12:13]
	s_and_saveexec_b64 s[12:13], s[6:7]
	s_cbranch_execz .LBB6_216
.LBB6_214:                              ;   in Loop: Header=BB6_6 Depth=1
	v_mad_u64_u32 v[12:13], s[6:7], s68, v2, 1
	v_add3_u32 v5, v10, v2, 1
	s_mov_b64 s[6:7], 0
	v_mov_b32_e32 v10, v0
.LBB6_215:                              ;   Parent Loop BB6_6 Depth=1
                                        ; =>  This Inner Loop Header: Depth=2
	v_add_u32_e32 v16, v5, v10
	v_ashrrev_i32_e32 v17, 31, v16
	v_lshlrev_b64 v[16:17], 3, v[16:17]
	v_mov_b32_e32 v11, s25
	v_add_co_u32_e32 v16, vcc, s24, v16
	v_addc_co_u32_e32 v17, vcc, v11, v17, vcc
	global_load_dwordx2 v[16:17], v[16:17], off
	v_add_u32_e32 v18, v12, v10
	v_add_u32_e32 v10, 0x100, v10
	v_ashrrev_i32_e32 v19, 31, v18
	v_cmp_ge_i32_e32 vcc, v10, v9
	v_lshlrev_b64 v[18:19], 3, v[18:19]
	v_mov_b32_e32 v11, s48
	s_or_b64 s[6:7], vcc, s[6:7]
	v_add_co_u32_e32 v18, vcc, s33, v18
	v_addc_co_u32_e32 v19, vcc, v11, v19, vcc
	s_waitcnt vmcnt(0)
	v_mul_f32_e32 v11, v14, v17
	v_mul_f32_e32 v21, v15, v17
	v_fma_f32 v20, v15, v16, -v11
	v_fmac_f32_e32 v21, v14, v16
	global_store_dwordx2 v[18:19], v[20:21], off
	s_andn2_b64 exec, exec, s[6:7]
	s_cbranch_execnz .LBB6_215
.LBB6_216:                              ;   in Loop: Header=BB6_6 Depth=1
	s_or_b64 exec, exec, s[12:13]
	v_mov_b32_e32 v5, 1
	s_or_b64 s[8:9], s[8:9], exec
	s_barrier
.LBB6_217:                              ;   in Loop: Header=BB6_6 Depth=1
	s_or_b64 exec, exec, s[10:11]
	s_branch .LBB6_221
.LBB6_218:                              ;   in Loop: Header=BB6_6 Depth=1
	ds_read_b32 v5, v7 offset:2052
	s_waitcnt lgkmcnt(0)
	v_readfirstlane_b32 s6, v5
	s_cmp_eq_u32 s6, 0
	s_cselect_b64 s[6:7], -1, 0
	s_and_b64 s[8:9], s[0:1], s[6:7]
	s_and_saveexec_b64 s[6:7], s[8:9]
	s_cbranch_execz .LBB6_220
; %bb.219:                              ;   in Loop: Header=BB6_6 Depth=1
	ds_write_b32 v7, v44 offset:2052
.LBB6_220:                              ;   in Loop: Header=BB6_6 Depth=1
	s_or_b64 exec, exec, s[6:7]
	s_mov_b64 s[8:9], -1
	v_mov_b32_e32 v5, 1
	v_mov_b32_e32 v6, v2
.LBB6_221:                              ;   in Loop: Header=BB6_6 Depth=1
	s_and_saveexec_b64 s[6:7], s[0:1]
	s_cbranch_execz .LBB6_4
; %bb.222:                              ;   in Loop: Header=BB6_6 Depth=1
	v_lshlrev_b64 v[10:11], 2, v[2:3]
	v_mov_b32_e32 v3, s65
	v_add_co_u32_e32 v10, vcc, s64, v10
	s_xor_b64 s[8:9], s[8:9], -1
	v_addc_co_u32_e32 v11, vcc, v3, v11, vcc
	s_and_saveexec_b64 s[10:11], s[8:9]
	s_xor_b64 s[8:9], exec, s[10:11]
	s_cbranch_execz .LBB6_224
; %bb.223:                              ;   in Loop: Header=BB6_6 Depth=1
	v_not_b32_e32 v12, v6
	v_mov_b32_e32 v13, v12
	global_store_dwordx2 v[10:11], v[12:13], off
                                        ; implicit-def: $vgpr6
                                        ; implicit-def: $vgpr10_vgpr11
.LBB6_224:                              ;   in Loop: Header=BB6_6 Depth=1
	s_andn2_saveexec_b64 s[8:9], s[8:9]
	s_cbranch_execz .LBB6_4
; %bb.225:                              ;   in Loop: Header=BB6_6 Depth=1
	v_add_u32_e32 v3, 1, v6
	global_store_dword v[10:11], v3, off
	s_branch .LBB6_4
.LBB6_226:
	s_or_b64 exec, exec, s[46:47]
	s_and_saveexec_b64 s[2:3], s[0:1]
	s_cbranch_execz .LBB6_228
.LBB6_227:
	v_mov_b32_e32 v1, 0
	s_lshl_b64 s[0:1], s[34:35], 2
	ds_read_b32 v3, v1 offset:2052
	s_add_u32 s4, s16, s0
	s_addc_u32 s5, s17, s1
	s_add_u32 s0, s14, s0
	s_addc_u32 s1, s15, s1
	global_store_dword v1, v2, s[4:5]
	s_waitcnt lgkmcnt(0)
	global_store_dword v1, v3, s[0:1]
.LBB6_228:
	s_or_b64 exec, exec, s[2:3]
	v_cmp_gt_i32_e32 vcc, s22, v2
	s_and_saveexec_b64 s[4:5], vcc
	s_cbranch_execz .LBB6_249
; %bb.229:
	v_ashrrev_i32_e32 v3, 31, v2
	s_add_u32 s2, s26, s36
	v_lshlrev_b64 v[6:7], 3, v[2:3]
	s_addc_u32 s3, s27, s37
	v_mov_b32_e32 v1, s3
	v_add_co_u32_e32 v3, vcc, s2, v6
	s_ashr_i32 s3, s23, 31
	s_mov_b32 s2, s23
	s_lshl_b64 s[6:7], s[2:3], 3
	s_ashr_i32 s3, s22, 31
	s_mov_b32 s2, s22
	v_addc_co_u32_e32 v1, vcc, v1, v7, vcc
	s_lshl_b64 s[8:9], s[2:3], 3
	v_add_co_u32_e32 v4, vcc, 4, v3
	s_add_u32 s2, s28, s30
	v_addc_co_u32_e32 v5, vcc, 0, v1, vcc
	s_addc_u32 s3, s29, s31
	v_mov_b32_e32 v1, s3
	v_add_co_u32_e32 v3, vcc, s2, v6
	v_addc_co_u32_e32 v1, vcc, v1, v7, vcc
	v_add_co_u32_e32 v3, vcc, v3, v31
	v_addc_co_u32_e32 v1, vcc, 0, v1, vcc
	s_ashr_i32 s3, s21, 31
	s_mov_b32 s2, s21
	v_mov_b32_e32 v6, s19
	v_add_co_u32_e32 v8, vcc, s18, v3
	s_lshl_b64 s[10:11], s[2:3], 3
	v_cmp_ne_u32_e64 s[0:1], 0, v2
	v_mov_b32_e32 v7, 0
	v_addc_co_u32_e32 v9, vcc, v6, v1, vcc
	s_mov_b64 s[12:13], 0
	v_mov_b32_e32 v1, s9
	v_mov_b32_e32 v3, s11
	v_mov_b32_e32 v10, v2
	s_branch .LBB6_231
.LBB6_230:                              ;   in Loop: Header=BB6_231 Depth=1
	s_or_b64 exec, exec, s[2:3]
	v_mov_b32_e32 v6, s7
	v_add_co_u32_e32 v4, vcc, s6, v4
	v_add_u32_e32 v10, s23, v10
	v_addc_co_u32_e32 v5, vcc, v5, v6, vcc
	v_cmp_le_i32_e32 vcc, s22, v10
	s_or_b64 s[12:13], vcc, s[12:13]
	v_add_co_u32_e32 v8, vcc, s6, v8
	v_addc_co_u32_e32 v9, vcc, v9, v6, vcc
	s_andn2_b64 exec, exec, s[12:13]
	s_cbranch_execz .LBB6_249
.LBB6_231:                              ; =>This Loop Header: Depth=1
                                        ;     Child Loop BB6_234 Depth 2
                                        ;       Child Loop BB6_237 Depth 3
                                        ;         Child Loop BB6_239 Depth 4
                                        ;     Child Loop BB6_245 Depth 2
                                        ;       Child Loop BB6_247 Depth 3
	v_sub_u32_e32 v11, s22, v10
	v_min_i32_e32 v13, s23, v11
	v_add_u32_e32 v12, v13, v10
	v_cmp_lt_i32_e32 vcc, 0, v13
	s_and_saveexec_b64 s[14:15], vcc
	s_cbranch_execz .LBB6_241
; %bb.232:                              ;   in Loop: Header=BB6_231 Depth=1
	s_mov_b64 s[16:17], 0
	v_pk_mov_b32 v[14:15], v[8:9], v[8:9] op_sel:[0,1]
	v_pk_mov_b32 v[16:17], v[4:5], v[4:5] op_sel:[0,1]
	v_mov_b32_e32 v18, v10
	s_branch .LBB6_234
.LBB6_233:                              ;   in Loop: Header=BB6_234 Depth=2
	s_or_b64 exec, exec, s[18:19]
	v_add_co_u32_e32 v16, vcc, 8, v16
	v_add_u32_e32 v18, 1, v18
	v_addc_co_u32_e32 v17, vcc, 0, v17, vcc
	v_cmp_ge_i32_e32 vcc, v18, v12
	s_or_b64 s[16:17], vcc, s[16:17]
	v_add_co_u32_e32 v14, vcc, 8, v14
	v_addc_co_u32_e32 v15, vcc, 0, v15, vcc
	s_andn2_b64 exec, exec, s[16:17]
	s_cbranch_execz .LBB6_241
.LBB6_234:                              ;   Parent Loop BB6_231 Depth=1
                                        ; =>  This Loop Header: Depth=2
                                        ;       Child Loop BB6_237 Depth 3
                                        ;         Child Loop BB6_239 Depth 4
	v_sub_u32_e32 v28, v12, v18
	v_cmp_gt_i32_e32 vcc, v28, v0
	s_and_saveexec_b64 s[18:19], vcc
	s_cbranch_execz .LBB6_233
; %bb.235:                              ;   in Loop: Header=BB6_234 Depth=2
	v_ashrrev_i32_e32 v19, 31, v18
	v_lshlrev_b64 v[20:21], 3, v[18:19]
	v_mov_b32_e32 v6, s48
	v_add_co_u32_e32 v19, vcc, s33, v20
	v_mul_lo_u32 v20, v18, s21
	v_addc_co_u32_e32 v6, vcc, v6, v21, vcc
	v_ashrrev_i32_e32 v21, 31, v20
	v_lshlrev_b64 v[20:21], 3, v[20:21]
	v_add_co_u32_e32 v19, vcc, v19, v20
	v_addc_co_u32_e32 v29, vcc, v6, v21, vcc
	s_mov_b64 s[26:27], 0
	v_pk_mov_b32 v[20:21], v[14:15], v[14:15] op_sel:[0,1]
	v_mov_b32_e32 v6, v0
	s_branch .LBB6_237
.LBB6_236:                              ;   in Loop: Header=BB6_237 Depth=3
	s_or_b64 exec, exec, s[2:3]
	v_lshlrev_b64 v[24:25], 3, v[6:7]
	v_add_co_u32_e32 v24, vcc, v19, v24
	v_addc_co_u32_e32 v25, vcc, v29, v25, vcc
	global_load_dwordx2 v[26:27], v[24:25], off
	v_xor_b32_e32 v32, 0x80000000, v22
	v_mov_b32_e32 v36, v23
	v_mul_f32_e32 v35, 0, v22
	v_add_u32_e32 v6, 0x100, v6
	v_add_co_u32_e32 v20, vcc, 0x800, v20
	v_cmp_ge_i32_e64 s[2:3], v6, v28
	s_or_b64 s[26:27], s[2:3], s[26:27]
	v_addc_co_u32_e32 v21, vcc, 0, v21, vcc
	s_waitcnt vmcnt(0)
	v_mov_b32_e32 v37, v26
	v_mov_b32_e32 v33, v27
	v_mul_f32_e32 v22, 0, v27
	v_mov_b32_e32 v34, v26
	v_pk_fma_f32 v[26:27], v[36:37], 0, v[32:33] op_sel_hi:[1,0,1] neg_lo:[1,0,0] neg_hi:[1,0,0]
	v_pk_fma_f32 v[32:33], v[36:37], 0, v[32:33] op_sel_hi:[1,0,1]
	v_pk_add_f32 v[22:23], v[34:35], v[22:23] neg_lo:[0,1] neg_hi:[0,1]
	v_mov_b32_e32 v27, v33
	v_pk_add_f32 v[22:23], v[26:27], v[22:23]
	global_store_dwordx2 v[24:25], v[22:23], off
	s_andn2_b64 exec, exec, s[26:27]
	s_cbranch_execz .LBB6_233
.LBB6_237:                              ;   Parent Loop BB6_231 Depth=1
                                        ;     Parent Loop BB6_234 Depth=2
                                        ; =>    This Loop Header: Depth=3
                                        ;         Child Loop BB6_239 Depth 4
	v_mov_b32_e32 v23, 0
	v_mov_b32_e32 v22, 0
	s_and_saveexec_b64 s[2:3], s[0:1]
	s_cbranch_execz .LBB6_236
; %bb.238:                              ;   in Loop: Header=BB6_237 Depth=3
	s_mov_b64 s[28:29], 0
	v_mov_b32_e32 v23, 0
	v_pk_mov_b32 v[24:25], v[20:21], v[20:21] op_sel:[0,1]
	v_pk_mov_b32 v[26:27], v[16:17], v[16:17] op_sel:[0,1]
	v_mov_b32_e32 v31, v2
	v_mov_b32_e32 v22, 0
.LBB6_239:                              ;   Parent Loop BB6_231 Depth=1
                                        ;     Parent Loop BB6_234 Depth=2
                                        ;       Parent Loop BB6_237 Depth=3
                                        ; =>      This Inner Loop Header: Depth=4
	global_load_dwordx2 v[32:33], v[24:25], off
	global_load_dwordx2 v[34:35], v[26:27], off offset:-4
	v_add_co_u32_e32 v26, vcc, s8, v26
	v_addc_co_u32_e32 v27, vcc, v27, v1, vcc
	v_add_co_u32_e32 v24, vcc, s10, v24
	v_add_u32_e32 v31, -1, v31
	v_addc_co_u32_e32 v25, vcc, v25, v3, vcc
	v_cmp_eq_u32_e32 vcc, 0, v31
	s_or_b64 s[28:29], vcc, s[28:29]
	s_waitcnt vmcnt(0)
	v_mul_f32_e32 v36, v35, v33
	v_mul_f32_e32 v33, v34, v33
	v_fma_f32 v34, v34, v32, -v36
	v_fmac_f32_e32 v33, v35, v32
	v_add_f32_e32 v22, v22, v34
	v_add_f32_e32 v23, v23, v33
	s_andn2_b64 exec, exec, s[28:29]
	s_cbranch_execnz .LBB6_239
; %bb.240:                              ;   in Loop: Header=BB6_237 Depth=3
	s_or_b64 exec, exec, s[28:29]
	s_branch .LBB6_236
.LBB6_241:                              ;   in Loop: Header=BB6_231 Depth=1
	s_or_b64 exec, exec, s[14:15]
	v_cmp_gt_i32_e32 vcc, s22, v12
	s_and_saveexec_b64 s[2:3], vcc
	s_cbranch_execz .LBB6_230
; %bb.242:                              ;   in Loop: Header=BB6_231 Depth=1
	v_sub_u32_e32 v18, v11, v13
	v_mul_lo_u32 v19, v18, v13
	v_cmp_gt_i32_e32 vcc, v19, v0
	s_and_b64 exec, exec, vcc
	s_cbranch_execz .LBB6_230
; %bb.243:                              ;   in Loop: Header=BB6_231 Depth=1
	v_ashrrev_i32_e32 v13, 31, v12
	v_lshlrev_b64 v[12:13], 3, v[12:13]
	v_mov_b32_e32 v6, s48
	v_add_co_u32_e32 v20, vcc, s33, v12
	v_ashrrev_i32_e32 v11, 31, v10
	v_addc_co_u32_e32 v21, vcc, v6, v13, vcc
	v_lshlrev_b64 v[12:13], 3, v[10:11]
	v_sub_u32_e32 v11, 0, v18
	v_max_i32_e32 v11, v18, v11
	v_cvt_f32_u32_e32 v14, v11
	v_mov_b32_e32 v6, s25
	v_add_co_u32_e32 v22, vcc, s24, v12
	v_addc_co_u32_e32 v23, vcc, v6, v13, vcc
	v_rcp_iflag_f32_e32 v6, v14
	v_mul_lo_u32 v12, v10, s21
	v_ashrrev_i32_e32 v13, 31, v12
	v_lshlrev_b64 v[12:13], 3, v[12:13]
	v_mul_f32_e32 v6, 0x4f7ffffe, v6
	v_cvt_u32_f32_e32 v6, v6
	v_add_co_u32_e32 v24, vcc, v20, v12
	v_sub_u32_e32 v12, 0, v11
	v_mul_lo_u32 v12, v12, v6
	v_mul_hi_u32 v12, v6, v12
	v_addc_co_u32_e32 v25, vcc, v21, v13, vcc
	v_ashrrev_i32_e32 v26, 31, v18
	v_add_u32_e32 v6, v6, v12
	s_mov_b64 s[14:15], 0
	v_mov_b32_e32 v27, v0
	s_branch .LBB6_245
.LBB6_244:                              ;   in Loop: Header=BB6_245 Depth=2
	s_or_b64 exec, exec, s[16:17]
	v_mad_u64_u32 v[14:15], s[16:17], v28, s21, v[12:13]
	v_ashrrev_i32_e32 v15, 31, v14
	v_lshlrev_b64 v[14:15], 3, v[14:15]
	v_add_co_u32_e32 v14, vcc, v24, v14
	v_addc_co_u32_e32 v15, vcc, v25, v15, vcc
	global_load_dwordx2 v[16:17], v[14:15], off
	v_xor_b32_e32 v28, 0x80000000, v29
	v_mul_f32_e32 v33, 0, v29
	v_mov_b32_e32 v34, v13
	v_add_u32_e32 v27, 0x100, v27
	v_cmp_ge_i32_e32 vcc, v27, v19
	s_or_b64 s[14:15], vcc, s[14:15]
	s_waitcnt vmcnt(0)
	v_mov_b32_e32 v35, v16
	v_mov_b32_e32 v29, v17
	v_mul_f32_e32 v12, 0, v17
	v_mov_b32_e32 v32, v16
	v_pk_fma_f32 v[16:17], v[34:35], 0, v[28:29] op_sel_hi:[1,0,1] neg_lo:[1,0,0] neg_hi:[1,0,0]
	v_pk_fma_f32 v[28:29], v[34:35], 0, v[28:29] op_sel_hi:[1,0,1]
	v_pk_add_f32 v[12:13], v[32:33], v[12:13] neg_lo:[0,1] neg_hi:[0,1]
	v_mov_b32_e32 v17, v29
	v_pk_add_f32 v[12:13], v[16:17], v[12:13]
	global_store_dwordx2 v[14:15], v[12:13], off
	s_andn2_b64 exec, exec, s[14:15]
	s_cbranch_execz .LBB6_230
.LBB6_245:                              ;   Parent Loop BB6_231 Depth=1
                                        ; =>  This Loop Header: Depth=2
                                        ;       Child Loop BB6_247 Depth 3
	v_mul_hi_u32 v12, v27, v6
	v_mul_lo_u32 v13, v12, v11
	v_sub_u32_e32 v13, v27, v13
	v_add_u32_e32 v14, 1, v12
	v_cmp_ge_u32_e32 vcc, v13, v11
	v_cndmask_b32_e32 v12, v12, v14, vcc
	v_sub_u32_e32 v14, v13, v11
	v_cndmask_b32_e32 v13, v13, v14, vcc
	v_add_u32_e32 v14, 1, v12
	v_cmp_ge_u32_e32 vcc, v13, v11
	v_cndmask_b32_e32 v12, v12, v14, vcc
	v_xor_b32_e32 v12, v12, v26
	v_sub_u32_e32 v28, v12, v26
	v_mul_lo_u32 v12, v28, v18
	v_sub_u32_e32 v12, v27, v12
	v_mov_b32_e32 v13, 0
	v_mov_b32_e32 v29, 0
	s_and_saveexec_b64 s[16:17], s[0:1]
	s_cbranch_execz .LBB6_244
; %bb.246:                              ;   in Loop: Header=BB6_245 Depth=2
	s_mov_b64 s[18:19], 0
	v_mov_b32_e32 v13, 0
	v_mov_b32_e32 v14, v12
	;; [unrolled: 1-line block ×5, first 2 shown]
.LBB6_247:                              ;   Parent Loop BB6_231 Depth=1
                                        ;     Parent Loop BB6_245 Depth=2
                                        ; =>    This Inner Loop Header: Depth=3
	v_ashrrev_i32_e32 v15, 31, v14
	v_lshlrev_b64 v[32:33], 3, v[14:15]
	v_add_co_u32_e32 v32, vcc, v20, v32
	v_ashrrev_i32_e32 v17, 31, v16
	v_addc_co_u32_e32 v33, vcc, v21, v33, vcc
	v_lshlrev_b64 v[34:35], 3, v[16:17]
	v_add_co_u32_e32 v34, vcc, v22, v34
	v_addc_co_u32_e32 v35, vcc, v23, v35, vcc
	global_load_dwordx2 v[36:37], v[32:33], off
	global_load_dwordx2 v[38:39], v[34:35], off
	v_add_u32_e32 v31, -1, v31
	v_cmp_eq_u32_e32 vcc, 0, v31
	v_add_u32_e32 v16, s22, v16
	s_or_b64 s[18:19], vcc, s[18:19]
	v_add_u32_e32 v14, s21, v14
	s_waitcnt vmcnt(0)
	v_mul_f32_e32 v15, v39, v37
	v_mul_f32_e32 v17, v38, v37
	v_fma_f32 v15, v38, v36, -v15
	v_fmac_f32_e32 v17, v39, v36
	v_add_f32_e32 v29, v29, v15
	v_add_f32_e32 v13, v13, v17
	s_andn2_b64 exec, exec, s[18:19]
	s_cbranch_execnz .LBB6_247
; %bb.248:                              ;   in Loop: Header=BB6_245 Depth=2
	s_or_b64 exec, exec, s[18:19]
	s_branch .LBB6_244
.LBB6_249:
	s_or_b64 exec, exec, s[4:5]
	v_cmp_lt_i32_e32 vcc, 1, v2
	s_waitcnt lgkmcnt(0)
	s_barrier
	s_and_saveexec_b64 s[0:1], vcc
	s_cbranch_execz .LBB6_257
; %bb.250:
	s_add_u32 s6, s33, -8
	s_addc_u32 s7, s48, -1
	s_lshl_b32 s8, s21, 8
	s_mov_b64 s[2:3], 0
	v_mov_b32_e32 v5, 0
	v_mov_b32_e32 v3, s65
	s_branch .LBB6_253
.LBB6_251:                              ;   in Loop: Header=BB6_253 Depth=1
	s_barrier
.LBB6_252:                              ;   in Loop: Header=BB6_253 Depth=1
	s_or_b64 exec, exec, s[0:1]
	v_cmp_gt_i32_e32 vcc, 2, v6
	s_or_b64 s[2:3], vcc, s[2:3]
	v_mov_b32_e32 v2, v6
	s_andn2_b64 exec, exec, s[2:3]
	s_cbranch_execz .LBB6_257
.LBB6_253:                              ; =>This Loop Header: Depth=1
                                        ;     Child Loop BB6_256 Depth 2
	v_add_u32_e32 v4, -1, v2
	v_lshlrev_b64 v[6:7], 2, v[4:5]
	v_add_co_u32_e32 v6, vcc, s64, v6
	v_addc_co_u32_e32 v7, vcc, v3, v7, vcc
	global_load_dword v1, v[6:7], off
	v_add_u32_e32 v6, -2, v2
	s_waitcnt vmcnt(0)
	v_not_b32_e32 v7, v1
	v_add_u32_e32 v8, -1, v1
	v_cmp_gt_i32_e32 vcc, 0, v1
	v_cndmask_b32_e32 v7, v8, v7, vcc
	v_cndmask_b32_e32 v6, v4, v6, vcc
	v_cmp_ne_u32_e32 vcc, v7, v4
	v_cmp_ne_u32_e64 s[0:1], 0, v6
	s_and_b64 s[4:5], vcc, s[0:1]
	s_and_saveexec_b64 s[0:1], s[4:5]
	s_cbranch_execz .LBB6_252
; %bb.254:                              ;   in Loop: Header=BB6_253 Depth=1
	v_cmp_gt_i32_e32 vcc, v6, v0
	s_and_b64 exec, exec, vcc
	s_cbranch_execz .LBB6_251
; %bb.255:                              ;   in Loop: Header=BB6_253 Depth=1
	v_ashrrev_i32_e32 v1, 31, v2
	s_mov_b64 s[4:5], 0
	v_mov_b32_e32 v4, v30
	v_mov_b32_e32 v8, v0
.LBB6_256:                              ;   Parent Loop BB6_253 Depth=1
                                        ; =>  This Inner Loop Header: Depth=2
	v_add_u32_e32 v10, v7, v4
	v_ashrrev_i32_e32 v13, 31, v4
	v_add_co_u32_e32 v12, vcc, v4, v2
	v_ashrrev_i32_e32 v11, 31, v10
	v_addc_co_u32_e32 v13, vcc, v13, v1, vcc
	v_lshlrev_b64 v[10:11], 3, v[10:11]
	v_mov_b32_e32 v9, s48
	v_add_co_u32_e32 v10, vcc, s33, v10
	v_lshlrev_b64 v[12:13], 3, v[12:13]
	v_addc_co_u32_e32 v11, vcc, v9, v11, vcc
	v_mov_b32_e32 v14, s7
	v_add_co_u32_e32 v12, vcc, s6, v12
	v_addc_co_u32_e32 v13, vcc, v14, v13, vcc
	global_load_dwordx2 v[14:15], v[12:13], off
	global_load_dwordx2 v[16:17], v[10:11], off
	v_add_u32_e32 v8, 0x100, v8
	v_cmp_ge_i32_e32 vcc, v8, v6
	v_add_u32_e32 v4, s8, v4
	s_or_b64 s[4:5], vcc, s[4:5]
	s_waitcnt vmcnt(1)
	global_store_dwordx2 v[10:11], v[14:15], off
	s_waitcnt vmcnt(1)
	global_store_dwordx2 v[12:13], v[16:17], off
	s_andn2_b64 exec, exec, s[4:5]
	s_cbranch_execnz .LBB6_256
	s_branch .LBB6_251
.LBB6_257:
	s_endpgm
.LBB6_258:
	v_mov_b32_e32 v2, 0
	s_and_saveexec_b64 s[2:3], s[0:1]
	s_cbranch_execnz .LBB6_227
	s_branch .LBB6_228
	.section	.rodata,"a",@progbits
	.p2align	6, 0x0
	.amdhsa_kernel _ZN9rocsolver6v33100L18lasyf_kernel_lowerI19rocblas_complex_numIfEPS3_EEviiPiT0_iilS5_lS5_PT_
		.amdhsa_group_segment_fixed_size 2068
		.amdhsa_private_segment_fixed_size 0
		.amdhsa_kernarg_size 72
		.amdhsa_user_sgpr_count 6
		.amdhsa_user_sgpr_private_segment_buffer 1
		.amdhsa_user_sgpr_dispatch_ptr 0
		.amdhsa_user_sgpr_queue_ptr 0
		.amdhsa_user_sgpr_kernarg_segment_ptr 1
		.amdhsa_user_sgpr_dispatch_id 0
		.amdhsa_user_sgpr_flat_scratch_init 0
		.amdhsa_user_sgpr_kernarg_preload_length 0
		.amdhsa_user_sgpr_kernarg_preload_offset 0
		.amdhsa_user_sgpr_private_segment_size 0
		.amdhsa_uses_dynamic_stack 0
		.amdhsa_system_sgpr_private_segment_wavefront_offset 0
		.amdhsa_system_sgpr_workgroup_id_x 1
		.amdhsa_system_sgpr_workgroup_id_y 1
		.amdhsa_system_sgpr_workgroup_id_z 0
		.amdhsa_system_sgpr_workgroup_info 0
		.amdhsa_system_vgpr_workitem_id 0
		.amdhsa_next_free_vgpr 52
		.amdhsa_next_free_sgpr 84
		.amdhsa_accum_offset 52
		.amdhsa_reserve_vcc 1
		.amdhsa_reserve_flat_scratch 0
		.amdhsa_float_round_mode_32 0
		.amdhsa_float_round_mode_16_64 0
		.amdhsa_float_denorm_mode_32 3
		.amdhsa_float_denorm_mode_16_64 3
		.amdhsa_dx10_clamp 1
		.amdhsa_ieee_mode 1
		.amdhsa_fp16_overflow 0
		.amdhsa_tg_split 0
		.amdhsa_exception_fp_ieee_invalid_op 0
		.amdhsa_exception_fp_denorm_src 0
		.amdhsa_exception_fp_ieee_div_zero 0
		.amdhsa_exception_fp_ieee_overflow 0
		.amdhsa_exception_fp_ieee_underflow 0
		.amdhsa_exception_fp_ieee_inexact 0
		.amdhsa_exception_int_div_zero 0
	.end_amdhsa_kernel
	.section	.text._ZN9rocsolver6v33100L18lasyf_kernel_lowerI19rocblas_complex_numIfEPS3_EEviiPiT0_iilS5_lS5_PT_,"axG",@progbits,_ZN9rocsolver6v33100L18lasyf_kernel_lowerI19rocblas_complex_numIfEPS3_EEviiPiT0_iilS5_lS5_PT_,comdat
.Lfunc_end6:
	.size	_ZN9rocsolver6v33100L18lasyf_kernel_lowerI19rocblas_complex_numIfEPS3_EEviiPiT0_iilS5_lS5_PT_, .Lfunc_end6-_ZN9rocsolver6v33100L18lasyf_kernel_lowerI19rocblas_complex_numIfEPS3_EEviiPiT0_iilS5_lS5_PT_
                                        ; -- End function
	.section	.AMDGPU.csdata,"",@progbits
; Kernel info:
; codeLenInByte = 11432
; NumSgprs: 88
; NumVgprs: 52
; NumAgprs: 0
; TotalNumVgprs: 52
; ScratchSize: 0
; MemoryBound: 0
; FloatMode: 240
; IeeeMode: 1
; LDSByteSize: 2068 bytes/workgroup (compile time only)
; SGPRBlocks: 10
; VGPRBlocks: 6
; NumSGPRsForWavesPerEU: 88
; NumVGPRsForWavesPerEU: 52
; AccumOffset: 52
; Occupancy: 8
; WaveLimiterHint : 1
; COMPUTE_PGM_RSRC2:SCRATCH_EN: 0
; COMPUTE_PGM_RSRC2:USER_SGPR: 6
; COMPUTE_PGM_RSRC2:TRAP_HANDLER: 0
; COMPUTE_PGM_RSRC2:TGID_X_EN: 1
; COMPUTE_PGM_RSRC2:TGID_Y_EN: 1
; COMPUTE_PGM_RSRC2:TGID_Z_EN: 0
; COMPUTE_PGM_RSRC2:TIDIG_COMP_CNT: 0
; COMPUTE_PGM_RSRC3_GFX90A:ACCUM_OFFSET: 12
; COMPUTE_PGM_RSRC3_GFX90A:TG_SPLIT: 0
	.section	.text._ZN9rocsolver6v33100L18lasyf_kernel_upperI19rocblas_complex_numIdEPS3_EEviiPiT0_iilS5_lS5_PT_,"axG",@progbits,_ZN9rocsolver6v33100L18lasyf_kernel_upperI19rocblas_complex_numIdEPS3_EEviiPiT0_iilS5_lS5_PT_,comdat
	.globl	_ZN9rocsolver6v33100L18lasyf_kernel_upperI19rocblas_complex_numIdEPS3_EEviiPiT0_iilS5_lS5_PT_ ; -- Begin function _ZN9rocsolver6v33100L18lasyf_kernel_upperI19rocblas_complex_numIdEPS3_EEviiPiT0_iilS5_lS5_PT_
	.p2align	8
	.type	_ZN9rocsolver6v33100L18lasyf_kernel_upperI19rocblas_complex_numIdEPS3_EEviiPiT0_iilS5_lS5_PT_,@function
_ZN9rocsolver6v33100L18lasyf_kernel_upperI19rocblas_complex_numIdEPS3_EEviiPiT0_iilS5_lS5_PT_: ; @_ZN9rocsolver6v33100L18lasyf_kernel_upperI19rocblas_complex_numIdEPS3_EEviiPiT0_iilS5_lS5_PT_
; %bb.0:
	s_add_u32 s0, s0, s12
	v_and_b32_e32 v1, 0x3ff, v0
	s_addc_u32 s1, s1, 0
	s_mov_b32 s46, s11
	v_cmp_eq_u32_e64 s[16:17], 0, v1
	s_and_saveexec_b64 s[8:9], s[16:17]
	s_cbranch_execz .LBB7_2
; %bb.1:
	v_mov_b32_e32 v2, 0
	ds_write_b32 v2, v2 offset:3100
.LBB7_2:
	s_or_b64 exec, exec, s[8:9]
	s_load_dwordx2 s[34:35], s[6:7], 0x18
	s_load_dwordx2 s[36:37], s[6:7], 0x0
	s_load_dwordx4 s[28:31], s[6:7], 0x8
	s_load_dwordx8 s[20:27], s[6:7], 0x20
	s_load_dwordx2 s[38:39], s[6:7], 0x40
	s_ashr_i32 s47, s46, 31
	s_waitcnt lgkmcnt(0)
	s_ashr_i32 s7, s34, 31
	s_mov_b32 s6, s34
	s_mul_i32 s8, s46, s21
	s_mul_hi_u32 s9, s46, s20
	s_add_i32 s8, s9, s8
	s_mul_i32 s9, s47, s20
	s_add_i32 s9, s8, s9
	s_mul_i32 s8, s46, s20
	s_lshl_b64 s[42:43], s[8:9], 4
	s_add_u32 s8, s30, s42
	s_addc_u32 s9, s31, s43
	s_lshl_b64 s[44:45], s[6:7], 4
	s_mul_i32 s6, s46, s36
	s_add_u32 s33, s8, s44
	s_mul_i32 s6, s6, s37
	s_addc_u32 s34, s9, s45
	s_ashr_i32 s7, s6, 31
	s_lshl_b64 s[40:41], s[6:7], 4
	s_add_u32 s67, s38, s40
	s_mul_i32 s6, s46, s25
	s_mul_hi_u32 s7, s46, s24
	s_addc_u32 s68, s39, s41
	s_add_i32 s6, s7, s6
	s_mul_i32 s7, s47, s24
	s_add_i32 s7, s6, s7
	s_mul_i32 s6, s46, s24
	s_lshl_b64 s[6:7], s[6:7], 2
	s_add_u32 s64, s22, s6
	s_addc_u32 s65, s23, s7
	s_add_i32 s66, s36, -1
	s_cmp_lt_i32 s66, 0
	v_lshlrev_b32_e32 v23, 4, v1
	v_add_u32_e32 v22, 1, v1
	s_mov_b32 s12, s37
	s_mov_b32 s22, s66
	s_cbranch_scc1 .LBB7_229
; %bb.3:
	s_sub_i32 s69, s37, s36
	s_add_i32 s94, s37, -1
	s_sub_i32 s70, s36, s37
	s_cmp_eq_u32 s37, s36
	s_cselect_b64 s[6:7], -1, 0
	s_add_i32 s71, s35, 1
	s_lshl_b32 s72, s36, 1
	s_add_u32 s73, s33, 16
	s_addc_u32 s74, s34, 0
	s_add_u32 s75, s67, 16
	s_addc_u32 s76, s68, 0
	s_add_u32 s77, s67, -16
	s_addc_u32 s78, s68, -1
	s_add_u32 s79, s33, -16
	s_addc_u32 s80, s34, -1
	s_add_u32 s81, s38, s40
	s_addc_u32 s82, s39, s41
	s_add_u32 s12, s42, s44
	s_addc_u32 s13, s43, s45
	;; [unrolled: 2-line block ×3, first 2 shown]
	s_add_u32 s85, s83, 8
	v_mov_b32_e32 v2, 0x800
	s_addc_u32 s86, s84, 0
	v_lshl_or_b32 v25, v1, 2, v2
	v_mov_b32_e32 v2, s86
	v_add_co_u32_e32 v26, vcc, s85, v23
	v_addc_co_u32_e32 v27, vcc, 0, v2, vcc
	v_mov_b32_e32 v28, s82
	v_add_co_u32_e32 v2, vcc, s81, v23
	v_addc_co_u32_e32 v3, vcc, 0, v28, vcc
	s_ashr_i32 s13, s35, 31
	s_mov_b32 s12, s35
	v_add_co_u32_e32 v29, vcc, 8, v2
	s_lshl_b64 s[24:25], s[12:13], 4
	v_addc_co_u32_e32 v30, vcc, 0, v3, vcc
	s_add_u32 s87, s81, 8
	v_add_co_u32_e32 v31, vcc, 16, v2
	v_add_u32_e32 v2, s37, v1
	s_movk_i32 s8, 0x80
	s_addc_u32 s88, s82, 0
	s_ashr_i32 s13, s36, 31
	s_mov_b32 s12, s36
	v_subrev_u32_e32 v2, s36, v2
	s_mov_b32 s50, 0
	s_mov_b32 s52, 0x66afed07
	v_lshlrev_b32_e32 v24, 3, v1
	v_cmp_gt_u32_e64 s[8:9], s8, v1
	v_cmp_gt_u32_e64 s[10:11], 64, v1
	v_mov_b32_e32 v11, 0
	s_lshl_b64 s[48:49], s[12:13], 4
	s_lshl_b32 s89, s35, 8
	v_addc_co_u32_e32 v32, vcc, 0, v3, vcc
	v_add_u32_e32 v33, 1, v2
	s_lshl_b32 s90, s36, 8
	s_mov_b32 s91, 0
	v_mov_b32_e32 v34, s25
	s_brev_b32 s51, 1
	s_brev_b32 s92, -2
	s_mov_b32 s53, 0x3fe47e0f
	s_xor_b64 s[54:55], s[6:7], -1
	s_movk_i32 s93, 0x1000
	s_mov_b32 s22, s66
	s_branch .LBB7_5
.LBB7_4:                                ;   in Loop: Header=BB7_5 Depth=1
	s_or_b64 exec, exec, s[12:13]
	s_add_i32 s22, s18, s22
	s_add_i32 s94, s22, s69
	s_cmp_lt_i32 s22, 0
	s_cselect_b64 s[6:7], -1, 0
	s_and_b64 vcc, exec, s[6:7]
	s_cbranch_vccnz .LBB7_228
.LBB7_5:                                ; =>This Loop Header: Depth=1
                                        ;     Child Loop BB7_8 Depth 2
                                        ;     Child Loop BB7_15 Depth 2
                                        ;       Child Loop BB7_17 Depth 3
                                        ;     Child Loop BB7_22 Depth 2
                                        ;     Child Loop BB7_65 Depth 2
	;; [unrolled: 1-line block ×4, first 2 shown]
                                        ;       Child Loop BB7_77 Depth 3
                                        ;     Child Loop BB7_82 Depth 2
                                        ;     Child Loop BB7_124 Depth 2
	;; [unrolled: 1-line block ×9, first 2 shown]
	s_cmp_le_i32 s22, s70
	s_cselect_b64 s[6:7], -1, 0
	s_and_b64 s[6:7], s[54:55], s[6:7]
	s_and_b64 vcc, exec, s[6:7]
	s_cbranch_vccnz .LBB7_18
; %bb.6:                                ;   in Loop: Header=BB7_5 Depth=1
	v_cmp_ge_i32_e64 s[14:15], s22, v1
	s_and_saveexec_b64 s[6:7], s[14:15]
	s_cbranch_execz .LBB7_9
; %bb.7:                                ;   in Loop: Header=BB7_5 Depth=1
	s_mul_i32 s13, s94, s36
	v_add_u32_e32 v2, s13, v1
	s_mul_i32 s12, s22, s35
	v_ashrrev_i32_e32 v3, 31, v2
	v_lshlrev_b64 v[2:3], 4, v[2:3]
	v_add_u32_e32 v4, s12, v1
	v_add_co_u32_e32 v2, vcc, s81, v2
	v_ashrrev_i32_e32 v5, 31, v4
	v_addc_co_u32_e32 v3, vcc, v28, v3, vcc
	v_lshlrev_b64 v[4:5], 4, v[4:5]
	v_mov_b32_e32 v6, s84
	v_add_co_u32_e32 v4, vcc, s83, v4
	v_addc_co_u32_e32 v5, vcc, v6, v5, vcc
	s_mov_b64 s[12:13], 0
	v_mov_b32_e32 v6, v1
.LBB7_8:                                ;   Parent Loop BB7_5 Depth=1
                                        ; =>  This Inner Loop Header: Depth=2
	global_load_dwordx4 v[12:15], v[4:5], off
	v_add_u32_e32 v6, 0x100, v6
	v_cmp_lt_i32_e32 vcc, s22, v6
	s_or_b64 s[12:13], vcc, s[12:13]
	s_waitcnt vmcnt(0)
	global_store_dwordx4 v[2:3], v[12:15], off
	v_add_co_u32_e32 v2, vcc, 0x1000, v2
	v_addc_co_u32_e32 v3, vcc, 0, v3, vcc
	v_add_co_u32_e32 v4, vcc, 0x1000, v4
	v_addc_co_u32_e32 v5, vcc, 0, v5, vcc
	s_andn2_b64 exec, exec, s[12:13]
	s_cbranch_execnz .LBB7_8
.LBB7_9:                                ;   in Loop: Header=BB7_5 Depth=1
	s_or_b64 exec, exec, s[6:7]
	s_cmp_ge_i32 s22, s66
	s_cselect_b64 s[58:59], -1, 0
	s_cmp_lt_i32 s22, s66
	s_mov_b64 s[6:7], -1
	s_barrier
	s_waitcnt lgkmcnt(0)
                                        ; implicit-def: $sgpr56
	s_cbranch_scc1 .LBB7_11
; %bb.10:                               ;   in Loop: Header=BB7_5 Depth=1
	s_mul_i32 s56, s94, s36
	s_ashr_i32 s57, s56, 31
	s_mov_b64 s[6:7], 0
.LBB7_11:                               ;   in Loop: Header=BB7_5 Depth=1
	s_andn2_b64 vcc, exec, s[6:7]
	s_cbranch_vccnz .LBB7_20
; %bb.12:                               ;   in Loop: Header=BB7_5 Depth=1
	s_mul_i32 s56, s94, s36
	s_ashr_i32 s57, s56, 31
	s_and_saveexec_b64 s[12:13], s[14:15]
	s_cbranch_execz .LBB7_19
; %bb.13:                               ;   in Loop: Header=BB7_5 Depth=1
	s_add_i32 s6, s22, 1
	s_add_i32 s18, s94, 1
	s_not_b32 s62, s22
	s_mul_i32 s6, s6, s35
	s_mul_i32 s20, s18, s36
	s_add_i32 s62, s62, s36
	s_ashr_i32 s7, s6, 31
	s_ashr_i32 s21, s20, 31
	s_lshl_b64 s[18:19], s[56:57], 4
	s_add_u32 s63, s67, s18
	s_addc_u32 s95, s68, s19
	s_cmp_gt_i32 s62, 0
	s_mov_b32 s23, s91
	s_cselect_b64 s[18:19], -1, 0
	s_lshl_b64 s[6:7], s[6:7], 4
	v_mov_b32_e32 v3, s7
	v_add_co_u32_e32 v2, vcc, s6, v26
	s_lshl_b64 s[6:7], s[20:21], 4
	s_lshl_b64 s[20:21], s[22:23], 4
	s_add_u32 s6, s6, s20
	s_addc_u32 s7, s7, s21
	s_add_u32 s20, s87, s6
	v_addc_co_u32_e32 v3, vcc, v27, v3, vcc
	s_addc_u32 s21, s88, s7
	s_mov_b64 s[60:61], 0
	v_mov_b32_e32 v10, v1
	s_branch .LBB7_15
.LBB7_14:                               ;   in Loop: Header=BB7_15 Depth=2
	v_lshlrev_b64 v[8:9], 4, v[10:11]
	v_mov_b32_e32 v12, s95
	v_add_co_u32_e32 v8, vcc, s63, v8
	v_addc_co_u32_e32 v9, vcc, v12, v9, vcc
	global_load_dwordx4 v[12:15], v[8:9], off
	v_fma_f64 v[16:17], v[4:5], s[50:51], -v[6:7]
	v_fma_f64 v[6:7], v[6:7], 0, -v[4:5]
	v_add_u32_e32 v10, 0x100, v10
	v_add_co_u32_e32 v2, vcc, 0x1000, v2
	v_cmp_lt_i32_e64 s[6:7], s22, v10
	s_or_b64 s[60:61], s[6:7], s[60:61]
	v_addc_co_u32_e32 v3, vcc, 0, v3, vcc
	s_waitcnt vmcnt(0)
	v_pk_mov_b32 v[4:5], v[12:13], v[12:13] op_sel:[0,1]
	v_fmac_f64_e32 v[4:5], 0x80000000, v[14:15]
	v_fmac_f64_e32 v[14:15], 0, v[12:13]
	v_add_f64 v[4:5], v[16:17], v[4:5]
	v_add_f64 v[6:7], v[6:7], v[14:15]
	global_store_dwordx4 v[8:9], v[4:7], off
	s_andn2_b64 exec, exec, s[60:61]
	s_cbranch_execz .LBB7_19
.LBB7_15:                               ;   Parent Loop BB7_5 Depth=1
                                        ; =>  This Loop Header: Depth=2
                                        ;       Child Loop BB7_17 Depth 3
	v_pk_mov_b32 v[4:5], 0, 0
	s_andn2_b64 vcc, exec, s[18:19]
	v_pk_mov_b32 v[6:7], v[4:5], v[4:5] op_sel:[0,1]
	s_cbranch_vccnz .LBB7_14
; %bb.16:                               ;   in Loop: Header=BB7_15 Depth=2
	v_pk_mov_b32 v[4:5], 0, 0
	s_mov_b64 s[6:7], s[20:21]
	v_pk_mov_b32 v[8:9], v[2:3], v[2:3] op_sel:[0,1]
	s_mov_b32 s23, s62
	v_pk_mov_b32 v[6:7], v[4:5], v[4:5] op_sel:[0,1]
.LBB7_17:                               ;   Parent Loop BB7_5 Depth=1
                                        ;     Parent Loop BB7_15 Depth=2
                                        ; =>    This Inner Loop Header: Depth=3
	global_load_dwordx4 v[12:15], v11, s[6:7] offset:-8
	global_load_dwordx4 v[16:19], v[8:9], off offset:-8
	s_add_i32 s23, s23, -1
	s_add_u32 s6, s6, s48
	v_add_co_u32_e32 v8, vcc, s24, v8
	s_addc_u32 s7, s7, s49
	v_addc_co_u32_e32 v9, vcc, v9, v34, vcc
	s_cmp_eq_u32 s23, 0
	s_waitcnt vmcnt(0)
	v_mul_f64 v[20:21], v[14:15], v[18:19]
	v_mul_f64 v[18:19], v[12:13], v[18:19]
	v_fma_f64 v[12:13], v[12:13], v[16:17], -v[20:21]
	v_fmac_f64_e32 v[18:19], v[14:15], v[16:17]
	v_add_f64 v[6:7], v[6:7], v[12:13]
	v_add_f64 v[4:5], v[4:5], v[18:19]
	s_cbranch_scc0 .LBB7_17
	s_branch .LBB7_14
.LBB7_18:                               ;   in Loop: Header=BB7_5 Depth=1
	s_cbranch_execz .LBB7_5
	s_branch .LBB7_228
.LBB7_19:                               ;   in Loop: Header=BB7_5 Depth=1
	s_or_b64 exec, exec, s[12:13]
	s_barrier
.LBB7_20:                               ;   in Loop: Header=BB7_5 Depth=1
	v_cmp_gt_i32_e64 s[12:13], s22, v1
	v_pk_mov_b32 v[2:3], 0, 0
	v_bfrev_b32_e32 v6, -2
	s_and_saveexec_b64 s[60:61], s[12:13]
	s_cbranch_execz .LBB7_24
; %bb.21:                               ;   in Loop: Header=BB7_5 Depth=1
	s_lshl_b64 s[6:7], s[56:57], 4
	v_mov_b32_e32 v2, s7
	v_add_co_u32_e32 v4, vcc, s6, v29
	v_addc_co_u32_e32 v5, vcc, v30, v2, vcc
	s_mov_b64 s[62:63], 0
	v_pk_mov_b32 v[2:3], 0, 0
	v_bfrev_b32_e32 v6, -2
	v_mov_b32_e32 v7, v1
.LBB7_22:                               ;   Parent Loop BB7_5 Depth=1
                                        ; =>  This Inner Loop Header: Depth=2
	global_load_dwordx4 v[12:15], v[4:5], off offset:-8
	v_add_co_u32_e32 v4, vcc, 0x1000, v4
	v_cmp_eq_u32_e64 s[6:7], s92, v6
	v_add_u32_e32 v10, 1, v7
	v_add_u32_e32 v7, 0x100, v7
	v_addc_co_u32_e32 v5, vcc, 0, v5, vcc
	v_cmp_le_i32_e32 vcc, s22, v7
	s_waitcnt vmcnt(0)
	v_xor_b32_e32 v8, 0x80000000, v13
	v_xor_b32_e32 v9, 0x80000000, v15
	v_cmp_gt_f64_e64 s[18:19], 0, v[14:15]
	v_cmp_gt_f64_e64 s[20:21], 0, v[12:13]
	v_cndmask_b32_e64 v13, v13, v8, s[20:21]
	v_cndmask_b32_e64 v15, v15, v9, s[18:19]
	v_add_f64 v[8:9], v[12:13], v[14:15]
	v_cmp_lt_f64_e64 s[18:19], v[2:3], v[8:9]
	s_or_b64 s[6:7], s[18:19], s[6:7]
	v_cndmask_b32_e64 v6, v6, v10, s[6:7]
	v_cndmask_b32_e64 v3, v3, v9, s[6:7]
	s_or_b64 s[62:63], vcc, s[62:63]
	v_cndmask_b32_e64 v2, v2, v8, s[6:7]
	s_andn2_b64 exec, exec, s[62:63]
	s_cbranch_execnz .LBB7_22
; %bb.23:                               ;   in Loop: Header=BB7_5 Depth=1
	s_or_b64 exec, exec, s[62:63]
.LBB7_24:                               ;   in Loop: Header=BB7_5 Depth=1
	s_or_b64 exec, exec, s[60:61]
	s_cmp_lt_i32 s22, 2
	ds_write_b64 v24, v[2:3]
	ds_write_b32 v25, v6
	s_waitcnt lgkmcnt(0)
	s_barrier
	s_cbranch_scc1 .LBB7_59
; %bb.25:                               ;   in Loop: Header=BB7_5 Depth=1
	s_and_saveexec_b64 s[18:19], s[8:9]
	s_cbranch_execz .LBB7_31
; %bb.26:                               ;   in Loop: Header=BB7_5 Depth=1
	ds_read_b64 v[4:5], v24 offset:1024
	ds_read_b32 v7, v25 offset:512
	s_waitcnt lgkmcnt(1)
	v_cmp_lt_f64_e64 s[20:21], v[2:3], v[4:5]
	v_cmp_nlt_f64_e32 vcc, v[2:3], v[4:5]
	s_and_saveexec_b64 s[60:61], vcc
	s_cbranch_execz .LBB7_28
; %bb.27:                               ;   in Loop: Header=BB7_5 Depth=1
	v_cmp_eq_f64_e32 vcc, v[2:3], v[4:5]
	s_waitcnt lgkmcnt(0)
	v_cmp_gt_i32_e64 s[6:7], v6, v7
	s_and_b64 s[6:7], vcc, s[6:7]
	s_andn2_b64 s[20:21], s[20:21], exec
	s_and_b64 s[6:7], s[6:7], exec
	s_or_b64 s[20:21], s[20:21], s[6:7]
.LBB7_28:                               ;   in Loop: Header=BB7_5 Depth=1
	s_or_b64 exec, exec, s[60:61]
	s_and_saveexec_b64 s[6:7], s[20:21]
	s_cbranch_execz .LBB7_30
; %bb.29:                               ;   in Loop: Header=BB7_5 Depth=1
	v_pk_mov_b32 v[2:3], v[4:5], v[4:5] op_sel:[0,1]
	s_waitcnt lgkmcnt(0)
	v_mov_b32_e32 v6, v7
	ds_write_b64 v24, v[4:5]
	ds_write_b32 v25, v7
.LBB7_30:                               ;   in Loop: Header=BB7_5 Depth=1
	s_or_b64 exec, exec, s[6:7]
.LBB7_31:                               ;   in Loop: Header=BB7_5 Depth=1
	s_or_b64 exec, exec, s[18:19]
	s_waitcnt lgkmcnt(0)
	s_barrier
	s_and_saveexec_b64 s[20:21], s[10:11]
	s_cbranch_execz .LBB7_58
; %bb.32:                               ;   in Loop: Header=BB7_5 Depth=1
	ds_read_b64 v[4:5], v24 offset:512
	ds_read_b32 v7, v25 offset:256
	s_waitcnt lgkmcnt(1)
	v_cmp_lt_f64_e64 s[18:19], v[2:3], v[4:5]
	v_cmp_nlt_f64_e32 vcc, v[2:3], v[4:5]
	s_and_saveexec_b64 s[60:61], vcc
	s_cbranch_execz .LBB7_34
; %bb.33:                               ;   in Loop: Header=BB7_5 Depth=1
	v_cmp_eq_f64_e32 vcc, v[2:3], v[4:5]
	s_waitcnt lgkmcnt(0)
	v_cmp_gt_i32_e64 s[6:7], v6, v7
	s_and_b64 s[6:7], vcc, s[6:7]
	s_andn2_b64 s[18:19], s[18:19], exec
	s_and_b64 s[6:7], s[6:7], exec
	s_or_b64 s[18:19], s[18:19], s[6:7]
.LBB7_34:                               ;   in Loop: Header=BB7_5 Depth=1
	s_or_b64 exec, exec, s[60:61]
	s_and_saveexec_b64 s[6:7], s[18:19]
	s_cbranch_execz .LBB7_36
; %bb.35:                               ;   in Loop: Header=BB7_5 Depth=1
	s_waitcnt lgkmcnt(0)
	v_mov_b32_e32 v6, v7
	v_pk_mov_b32 v[2:3], v[4:5], v[4:5] op_sel:[0,1]
	ds_write_b64 v24, v[4:5]
	ds_write_b32 v25, v7
.LBB7_36:                               ;   in Loop: Header=BB7_5 Depth=1
	s_or_b64 exec, exec, s[6:7]
	ds_read_b64 v[4:5], v24 offset:256
	s_waitcnt lgkmcnt(1)
	ds_read_b32 v7, v25 offset:128
	s_waitcnt lgkmcnt(1)
	v_cmp_lt_f64_e64 s[18:19], v[2:3], v[4:5]
	v_cmp_nlt_f64_e32 vcc, v[2:3], v[4:5]
	s_and_saveexec_b64 s[60:61], vcc
	s_cbranch_execz .LBB7_38
; %bb.37:                               ;   in Loop: Header=BB7_5 Depth=1
	v_cmp_eq_f64_e32 vcc, v[2:3], v[4:5]
	s_waitcnt lgkmcnt(0)
	v_cmp_gt_i32_e64 s[6:7], v6, v7
	s_and_b64 s[6:7], vcc, s[6:7]
	s_andn2_b64 s[18:19], s[18:19], exec
	s_and_b64 s[6:7], s[6:7], exec
	s_or_b64 s[18:19], s[18:19], s[6:7]
.LBB7_38:                               ;   in Loop: Header=BB7_5 Depth=1
	s_or_b64 exec, exec, s[60:61]
	s_and_saveexec_b64 s[6:7], s[18:19]
	s_cbranch_execz .LBB7_40
; %bb.39:                               ;   in Loop: Header=BB7_5 Depth=1
	s_waitcnt lgkmcnt(0)
	v_mov_b32_e32 v6, v7
	v_pk_mov_b32 v[2:3], v[4:5], v[4:5] op_sel:[0,1]
	ds_write_b64 v24, v[4:5]
	ds_write_b32 v25, v7
.LBB7_40:                               ;   in Loop: Header=BB7_5 Depth=1
	s_or_b64 exec, exec, s[6:7]
	ds_read_b64 v[4:5], v24 offset:128
	s_waitcnt lgkmcnt(1)
	;; [unrolled: 28-line block ×6, first 2 shown]
	ds_read_b32 v7, v25 offset:4
	s_waitcnt lgkmcnt(1)
	v_cmp_eq_f64_e64 s[6:7], v[2:3], v[4:5]
	s_waitcnt lgkmcnt(0)
	v_cmp_gt_i32_e64 s[18:19], v6, v7
	v_cmp_lt_f64_e32 vcc, v[2:3], v[4:5]
	s_and_b64 s[6:7], s[6:7], s[18:19]
	s_or_b64 s[6:7], vcc, s[6:7]
	s_and_b64 exec, exec, s[6:7]
	s_cbranch_execz .LBB7_58
; %bb.57:                               ;   in Loop: Header=BB7_5 Depth=1
	ds_write_b64 v24, v[4:5]
	ds_write_b32 v25, v7
.LBB7_58:                               ;   in Loop: Header=BB7_5 Depth=1
	s_or_b64 exec, exec, s[20:21]
.LBB7_59:                               ;   in Loop: Header=BB7_5 Depth=1
	s_and_saveexec_b64 s[6:7], s[16:17]
	s_cbranch_execz .LBB7_61
; %bb.60:                               ;   in Loop: Header=BB7_5 Depth=1
	s_add_i32 s18, s56, s22
	s_ashr_i32 s19, s18, 31
	s_lshl_b64 s[18:19], s[18:19], 4
	s_add_u32 s18, s67, s18
	s_addc_u32 s19, s68, s19
	global_load_dwordx4 v[2:5], v11, s[18:19]
	ds_read_b32 v8, v11 offset:2048
	ds_read_b64 v[6:7], v11
	s_waitcnt lgkmcnt(1)
	v_add_u32_e32 v8, -1, v8
	ds_write_b32 v11, v8 offset:3096
	s_waitcnt vmcnt(0)
	v_xor_b32_e32 v8, 0x80000000, v3
	v_cmp_gt_f64_e32 vcc, 0, v[2:3]
	v_xor_b32_e32 v9, 0x80000000, v5
	v_cndmask_b32_e32 v3, v3, v8, vcc
	v_cmp_gt_f64_e32 vcc, 0, v[4:5]
	v_cndmask_b32_e32 v5, v5, v9, vcc
	v_add_f64 v[4:5], v[2:3], v[4:5]
	s_waitcnt lgkmcnt(1)
	ds_write_b128 v11, v[4:7] offset:3072
.LBB7_61:                               ;   in Loop: Header=BB7_5 Depth=1
	s_or_b64 exec, exec, s[6:7]
	s_waitcnt lgkmcnt(0)
	s_barrier
	ds_read_b128 v[2:5], v11 offset:3072
	s_waitcnt lgkmcnt(0)
	v_cmp_lt_f64_e32 vcc, v[2:3], v[4:5]
	v_cndmask_b32_e32 v7, v3, v5, vcc
	v_cndmask_b32_e32 v6, v2, v4, vcc
	v_cmp_neq_f64_e32 vcc, 0, v[6:7]
	s_cbranch_vccz .LBB7_78
; %bb.62:                               ;   in Loop: Header=BB7_5 Depth=1
	v_mul_f64 v[4:5], v[4:5], s[52:53]
	v_cmp_ge_f64_e32 vcc, v[2:3], v[4:5]
	s_cbranch_vccnz .LBB7_170
; %bb.63:                               ;   in Loop: Header=BB7_5 Depth=1
	ds_read_b32 v2, v11 offset:3096
	s_waitcnt lgkmcnt(0)
	v_readfirstlane_b32 s20, v2
	v_cmp_ge_i32_e32 vcc, v2, v1
	s_and_saveexec_b64 s[6:7], vcc
	s_cbranch_execz .LBB7_66
; %bb.64:                               ;   in Loop: Header=BB7_5 Depth=1
	s_add_i32 s19, s94, -1
	s_mul_i32 s19, s19, s36
	v_add_u32_e32 v2, s19, v1
	v_ashrrev_i32_e32 v3, 31, v2
	v_lshlrev_b64 v[2:3], 4, v[2:3]
	s_mul_i32 s18, s20, s35
	v_mov_b32_e32 v4, s82
	v_add_co_u32_e32 v2, vcc, s81, v2
	v_addc_co_u32_e32 v3, vcc, v4, v3, vcc
	v_add_u32_e32 v4, s18, v1
	v_ashrrev_i32_e32 v5, 31, v4
	v_lshlrev_b64 v[4:5], 4, v[4:5]
	v_mov_b32_e32 v6, s84
	v_add_co_u32_e32 v4, vcc, s83, v4
	v_addc_co_u32_e32 v5, vcc, v6, v5, vcc
	s_mov_b64 s[18:19], 0
	v_mov_b32_e32 v6, v1
.LBB7_65:                               ;   Parent Loop BB7_5 Depth=1
                                        ; =>  This Inner Loop Header: Depth=2
	global_load_dwordx4 v[12:15], v[4:5], off
	v_add_u32_e32 v6, 0x100, v6
	v_cmp_lt_i32_e32 vcc, s20, v6
	s_or_b64 s[18:19], vcc, s[18:19]
	s_waitcnt vmcnt(0)
	global_store_dwordx4 v[2:3], v[12:15], off
	v_add_co_u32_e32 v2, vcc, 0x1000, v2
	v_addc_co_u32_e32 v3, vcc, 0, v3, vcc
	v_add_co_u32_e32 v4, vcc, 0x1000, v4
	v_addc_co_u32_e32 v5, vcc, 0, v5, vcc
	s_andn2_b64 exec, exec, s[18:19]
	s_cbranch_execnz .LBB7_65
.LBB7_66:                               ;   in Loop: Header=BB7_5 Depth=1
	s_or_b64 exec, exec, s[6:7]
	s_sub_i32 s21, s22, s20
	v_cmp_gt_i32_e32 vcc, s21, v1
	s_and_saveexec_b64 s[6:7], vcc
	s_cbranch_execz .LBB7_69
; %bb.67:                               ;   in Loop: Header=BB7_5 Depth=1
	s_add_i32 s18, s94, -1
	s_mul_i32 s18, s18, s36
	v_add_u32_e32 v2, s20, v22
	s_add_i32 s23, s20, s18
	v_mul_lo_u32 v2, s35, v2
	s_add_i32 s23, s23, 1
	v_add_u32_e32 v2, s20, v2
	s_mov_b64 s[18:19], 0
	v_mov_b32_e32 v4, v1
.LBB7_68:                               ;   Parent Loop BB7_5 Depth=1
                                        ; =>  This Inner Loop Header: Depth=2
	v_ashrrev_i32_e32 v3, 31, v2
	v_lshlrev_b64 v[6:7], 4, v[2:3]
	v_mov_b32_e32 v5, s34
	v_add_co_u32_e32 v6, vcc, s33, v6
	v_addc_co_u32_e32 v7, vcc, v5, v7, vcc
	global_load_dwordx4 v[6:9], v[6:7], off
	v_add_u32_e32 v12, s23, v4
	v_add_u32_e32 v4, 0x100, v4
	v_ashrrev_i32_e32 v13, 31, v12
	v_cmp_le_i32_e32 vcc, s21, v4
	v_lshlrev_b64 v[12:13], 4, v[12:13]
	v_mov_b32_e32 v3, s68
	s_or_b64 s[18:19], vcc, s[18:19]
	v_add_co_u32_e32 v12, vcc, s67, v12
	v_add_u32_e32 v2, s89, v2
	v_addc_co_u32_e32 v13, vcc, v3, v13, vcc
	s_waitcnt vmcnt(0)
	global_store_dwordx4 v[12:13], v[6:9], off
	s_andn2_b64 exec, exec, s[18:19]
	s_cbranch_execnz .LBB7_68
.LBB7_69:                               ;   in Loop: Header=BB7_5 Depth=1
	s_or_b64 exec, exec, s[6:7]
	s_andn2_b64 vcc, exec, s[58:59]
	s_mov_b64 s[6:7], -1
	s_barrier
	s_waitcnt lgkmcnt(0)
                                        ; implicit-def: $sgpr58
	s_cbranch_vccnz .LBB7_71
; %bb.70:                               ;   in Loop: Header=BB7_5 Depth=1
	s_add_i32 s6, s94, -1
	s_mul_i32 s58, s6, s36
	s_ashr_i32 s59, s58, 31
	s_mov_b64 s[6:7], 0
.LBB7_71:                               ;   in Loop: Header=BB7_5 Depth=1
	s_andn2_b64 vcc, exec, s[6:7]
	s_cbranch_vccnz .LBB7_80
; %bb.72:                               ;   in Loop: Header=BB7_5 Depth=1
	s_add_i32 s6, s94, 1
	s_mul_i32 s6, s6, s36
	s_sub_i32 s58, s6, s72
	s_ashr_i32 s59, s58, 31
	s_and_saveexec_b64 s[18:19], s[14:15]
	s_cbranch_execz .LBB7_79
; %bb.73:                               ;   in Loop: Header=BB7_5 Depth=1
	s_add_i32 s7, s22, 1
	s_not_b32 s23, s22
	s_mul_i32 s60, s7, s35
	ds_read_b32 v4, v11 offset:3096
	s_add_i32 s23, s23, s36
	s_ashr_i32 s61, s60, 31
	s_ashr_i32 s7, s6, 31
	s_lshl_b64 s[20:21], s[58:59], 4
	s_add_u32 s57, s67, s20
	s_addc_u32 s62, s68, s21
	s_cmp_gt_i32 s23, 0
	s_cselect_b64 s[20:21], -1, 0
	s_lshl_b64 s[60:61], s[60:61], 4
	s_waitcnt lgkmcnt(0)
	v_ashrrev_i32_e32 v5, 31, v4
	v_mov_b32_e32 v3, s61
	v_add_co_u32_e32 v2, vcc, s60, v26
	v_addc_co_u32_e32 v3, vcc, v27, v3, vcc
	v_lshlrev_b64 v[4:5], 4, v[4:5]
	s_lshl_b64 s[6:7], s[6:7], 4
	v_mov_b32_e32 v6, s7
	v_add_co_u32_e32 v4, vcc, s6, v4
	v_addc_co_u32_e32 v5, vcc, v5, v6, vcc
	v_mov_b32_e32 v6, s88
	v_add_co_u32_e32 v4, vcc, s87, v4
	v_addc_co_u32_e32 v5, vcc, v6, v5, vcc
	s_mov_b64 s[60:61], 0
	v_mov_b32_e32 v10, v1
	s_branch .LBB7_75
.LBB7_74:                               ;   in Loop: Header=BB7_75 Depth=2
	v_lshlrev_b64 v[12:13], 4, v[10:11]
	v_mov_b32_e32 v14, s62
	v_add_co_u32_e32 v16, vcc, s57, v12
	v_addc_co_u32_e32 v17, vcc, v14, v13, vcc
	global_load_dwordx4 v[12:15], v[16:17], off
	v_fma_f64 v[18:19], v[6:7], s[50:51], -v[8:9]
	v_fma_f64 v[8:9], v[8:9], 0, -v[6:7]
	v_add_u32_e32 v10, 0x100, v10
	v_add_co_u32_e32 v2, vcc, 0x1000, v2
	v_cmp_lt_i32_e64 s[6:7], s22, v10
	s_or_b64 s[60:61], s[6:7], s[60:61]
	v_addc_co_u32_e32 v3, vcc, 0, v3, vcc
	s_waitcnt vmcnt(0)
	v_pk_mov_b32 v[6:7], v[12:13], v[12:13] op_sel:[0,1]
	v_fmac_f64_e32 v[6:7], 0x80000000, v[14:15]
	v_fmac_f64_e32 v[14:15], 0, v[12:13]
	v_add_f64 v[6:7], v[18:19], v[6:7]
	v_add_f64 v[8:9], v[8:9], v[14:15]
	global_store_dwordx4 v[16:17], v[6:9], off
	s_andn2_b64 exec, exec, s[60:61]
	s_cbranch_execz .LBB7_79
.LBB7_75:                               ;   Parent Loop BB7_5 Depth=1
                                        ; =>  This Loop Header: Depth=2
                                        ;       Child Loop BB7_77 Depth 3
	v_pk_mov_b32 v[6:7], 0, 0
	s_andn2_b64 vcc, exec, s[20:21]
	v_pk_mov_b32 v[8:9], v[6:7], v[6:7] op_sel:[0,1]
	s_cbranch_vccnz .LBB7_74
; %bb.76:                               ;   in Loop: Header=BB7_75 Depth=2
	v_pk_mov_b32 v[6:7], 0, 0
	v_pk_mov_b32 v[12:13], v[4:5], v[4:5] op_sel:[0,1]
	v_pk_mov_b32 v[14:15], v[2:3], v[2:3] op_sel:[0,1]
	s_mov_b32 s63, s23
	v_pk_mov_b32 v[8:9], v[6:7], v[6:7] op_sel:[0,1]
.LBB7_77:                               ;   Parent Loop BB7_5 Depth=1
                                        ;     Parent Loop BB7_75 Depth=2
                                        ; =>    This Inner Loop Header: Depth=3
	global_load_dwordx4 v[16:19], v[12:13], off offset:-8
	global_load_dwordx4 v[36:39], v[14:15], off offset:-8
	v_mov_b32_e32 v20, s25
	v_mov_b32_e32 v21, s49
	v_add_co_u32_e32 v12, vcc, s48, v12
	v_add_co_u32_e64 v14, s[6:7], s24, v14
	v_addc_co_u32_e64 v15, s[6:7], v15, v20, s[6:7]
	v_addc_co_u32_e32 v13, vcc, v13, v21, vcc
	s_add_i32 s63, s63, -1
	s_cmp_eq_u32 s63, 0
	s_waitcnt vmcnt(0)
	v_mul_f64 v[20:21], v[18:19], v[38:39]
	v_mul_f64 v[38:39], v[16:17], v[38:39]
	v_fma_f64 v[16:17], v[16:17], v[36:37], -v[20:21]
	v_fmac_f64_e32 v[38:39], v[18:19], v[36:37]
	v_add_f64 v[8:9], v[8:9], v[16:17]
	v_add_f64 v[6:7], v[6:7], v[38:39]
	s_cbranch_scc0 .LBB7_77
	s_branch .LBB7_74
.LBB7_78:                               ;   in Loop: Header=BB7_5 Depth=1
                                        ; implicit-def: $sgpr57
                                        ; implicit-def: $sgpr18
                                        ; implicit-def: $sgpr6_sgpr7
	s_cbranch_execz .LBB7_189
	s_branch .LBB7_221
.LBB7_79:                               ;   in Loop: Header=BB7_5 Depth=1
	s_or_b64 exec, exec, s[18:19]
	s_barrier
.LBB7_80:                               ;   in Loop: Header=BB7_5 Depth=1
	ds_read_b32 v4, v11 offset:3096
	v_pk_mov_b32 v[2:3], 0, 0
	v_bfrev_b32_e32 v6, -2
	s_waitcnt lgkmcnt(0)
	v_sub_u32_e32 v7, s22, v4
	v_cmp_gt_i32_e32 vcc, v7, v1
	s_and_saveexec_b64 s[60:61], vcc
	s_cbranch_execz .LBB7_84
; %bb.81:                               ;   in Loop: Header=BB7_5 Depth=1
	v_ashrrev_i32_e32 v5, 31, v4
	s_lshl_b64 s[6:7], s[58:59], 4
	v_lshlrev_b64 v[2:3], 4, v[4:5]
	v_mov_b32_e32 v4, s7
	v_add_co_u32_e32 v2, vcc, s6, v2
	v_addc_co_u32_e32 v3, vcc, v4, v3, vcc
	v_add_co_u32_e32 v4, vcc, v31, v2
	v_addc_co_u32_e32 v5, vcc, v32, v3, vcc
	s_mov_b64 s[62:63], 0
	v_pk_mov_b32 v[2:3], 0, 0
	v_bfrev_b32_e32 v6, -2
	v_mov_b32_e32 v8, v1
.LBB7_82:                               ;   Parent Loop BB7_5 Depth=1
                                        ; =>  This Inner Loop Header: Depth=2
	global_load_dwordx4 v[12:15], v[4:5], off
	v_add_co_u32_e32 v4, vcc, 0x1000, v4
	v_cmp_eq_u32_e64 s[6:7], s92, v6
	v_add_u32_e32 v9, 1, v8
	v_add_u32_e32 v8, 0x100, v8
	v_addc_co_u32_e32 v5, vcc, 0, v5, vcc
	v_cmp_ge_i32_e32 vcc, v8, v7
	s_waitcnt vmcnt(0)
	v_xor_b32_e32 v10, 0x80000000, v13
	v_xor_b32_e32 v16, 0x80000000, v15
	v_cmp_gt_f64_e64 s[18:19], 0, v[14:15]
	v_cmp_gt_f64_e64 s[20:21], 0, v[12:13]
	v_cndmask_b32_e64 v13, v13, v10, s[20:21]
	v_cndmask_b32_e64 v15, v15, v16, s[18:19]
	v_add_f64 v[12:13], v[12:13], v[14:15]
	v_cmp_lt_f64_e64 s[18:19], v[2:3], v[12:13]
	s_or_b64 s[6:7], s[18:19], s[6:7]
	v_cndmask_b32_e64 v6, v6, v9, s[6:7]
	v_cndmask_b32_e64 v3, v3, v13, s[6:7]
	s_or_b64 s[62:63], vcc, s[62:63]
	v_cndmask_b32_e64 v2, v2, v12, s[6:7]
	s_andn2_b64 exec, exec, s[62:63]
	s_cbranch_execnz .LBB7_82
; %bb.83:                               ;   in Loop: Header=BB7_5 Depth=1
	s_or_b64 exec, exec, s[62:63]
.LBB7_84:                               ;   in Loop: Header=BB7_5 Depth=1
	s_or_b64 exec, exec, s[60:61]
	v_cmp_gt_i32_e32 vcc, 2, v7
	s_and_b64 vcc, exec, vcc
	ds_write_b64 v24, v[2:3]
	ds_write_b32 v25, v6
	s_waitcnt lgkmcnt(0)
	s_barrier
	s_cbranch_vccnz .LBB7_119
; %bb.85:                               ;   in Loop: Header=BB7_5 Depth=1
	s_and_saveexec_b64 s[18:19], s[8:9]
	s_cbranch_execz .LBB7_91
; %bb.86:                               ;   in Loop: Header=BB7_5 Depth=1
	ds_read_b64 v[4:5], v24 offset:1024
	ds_read_b32 v7, v25 offset:512
	s_waitcnt lgkmcnt(1)
	v_cmp_lt_f64_e64 s[20:21], v[2:3], v[4:5]
	v_cmp_nlt_f64_e32 vcc, v[2:3], v[4:5]
	s_and_saveexec_b64 s[60:61], vcc
	s_cbranch_execz .LBB7_88
; %bb.87:                               ;   in Loop: Header=BB7_5 Depth=1
	v_cmp_eq_f64_e32 vcc, v[2:3], v[4:5]
	s_waitcnt lgkmcnt(0)
	v_cmp_gt_i32_e64 s[6:7], v6, v7
	s_and_b64 s[6:7], vcc, s[6:7]
	s_andn2_b64 s[20:21], s[20:21], exec
	s_and_b64 s[6:7], s[6:7], exec
	s_or_b64 s[20:21], s[20:21], s[6:7]
.LBB7_88:                               ;   in Loop: Header=BB7_5 Depth=1
	s_or_b64 exec, exec, s[60:61]
	s_and_saveexec_b64 s[6:7], s[20:21]
	s_cbranch_execz .LBB7_90
; %bb.89:                               ;   in Loop: Header=BB7_5 Depth=1
	v_pk_mov_b32 v[2:3], v[4:5], v[4:5] op_sel:[0,1]
	s_waitcnt lgkmcnt(0)
	v_mov_b32_e32 v6, v7
	ds_write_b64 v24, v[4:5]
	ds_write_b32 v25, v7
.LBB7_90:                               ;   in Loop: Header=BB7_5 Depth=1
	s_or_b64 exec, exec, s[6:7]
.LBB7_91:                               ;   in Loop: Header=BB7_5 Depth=1
	s_or_b64 exec, exec, s[18:19]
	s_waitcnt lgkmcnt(0)
	s_barrier
	s_and_saveexec_b64 s[20:21], s[10:11]
	s_cbranch_execz .LBB7_118
; %bb.92:                               ;   in Loop: Header=BB7_5 Depth=1
	ds_read_b64 v[4:5], v24 offset:512
	ds_read_b32 v7, v25 offset:256
	s_waitcnt lgkmcnt(1)
	v_cmp_lt_f64_e64 s[18:19], v[2:3], v[4:5]
	v_cmp_nlt_f64_e32 vcc, v[2:3], v[4:5]
	s_and_saveexec_b64 s[60:61], vcc
	s_cbranch_execz .LBB7_94
; %bb.93:                               ;   in Loop: Header=BB7_5 Depth=1
	v_cmp_eq_f64_e32 vcc, v[2:3], v[4:5]
	s_waitcnt lgkmcnt(0)
	v_cmp_gt_i32_e64 s[6:7], v6, v7
	s_and_b64 s[6:7], vcc, s[6:7]
	s_andn2_b64 s[18:19], s[18:19], exec
	s_and_b64 s[6:7], s[6:7], exec
	s_or_b64 s[18:19], s[18:19], s[6:7]
.LBB7_94:                               ;   in Loop: Header=BB7_5 Depth=1
	s_or_b64 exec, exec, s[60:61]
	s_and_saveexec_b64 s[6:7], s[18:19]
	s_cbranch_execz .LBB7_96
; %bb.95:                               ;   in Loop: Header=BB7_5 Depth=1
	s_waitcnt lgkmcnt(0)
	v_mov_b32_e32 v6, v7
	v_pk_mov_b32 v[2:3], v[4:5], v[4:5] op_sel:[0,1]
	ds_write_b64 v24, v[4:5]
	ds_write_b32 v25, v7
.LBB7_96:                               ;   in Loop: Header=BB7_5 Depth=1
	s_or_b64 exec, exec, s[6:7]
	ds_read_b64 v[4:5], v24 offset:256
	s_waitcnt lgkmcnt(1)
	ds_read_b32 v7, v25 offset:128
	s_waitcnt lgkmcnt(1)
	v_cmp_lt_f64_e64 s[18:19], v[2:3], v[4:5]
	v_cmp_nlt_f64_e32 vcc, v[2:3], v[4:5]
	s_and_saveexec_b64 s[60:61], vcc
	s_cbranch_execz .LBB7_98
; %bb.97:                               ;   in Loop: Header=BB7_5 Depth=1
	v_cmp_eq_f64_e32 vcc, v[2:3], v[4:5]
	s_waitcnt lgkmcnt(0)
	v_cmp_gt_i32_e64 s[6:7], v6, v7
	s_and_b64 s[6:7], vcc, s[6:7]
	s_andn2_b64 s[18:19], s[18:19], exec
	s_and_b64 s[6:7], s[6:7], exec
	s_or_b64 s[18:19], s[18:19], s[6:7]
.LBB7_98:                               ;   in Loop: Header=BB7_5 Depth=1
	s_or_b64 exec, exec, s[60:61]
	s_and_saveexec_b64 s[6:7], s[18:19]
	s_cbranch_execz .LBB7_100
; %bb.99:                               ;   in Loop: Header=BB7_5 Depth=1
	s_waitcnt lgkmcnt(0)
	v_mov_b32_e32 v6, v7
	v_pk_mov_b32 v[2:3], v[4:5], v[4:5] op_sel:[0,1]
	ds_write_b64 v24, v[4:5]
	ds_write_b32 v25, v7
.LBB7_100:                              ;   in Loop: Header=BB7_5 Depth=1
	s_or_b64 exec, exec, s[6:7]
	ds_read_b64 v[4:5], v24 offset:128
	s_waitcnt lgkmcnt(1)
	ds_read_b32 v7, v25 offset:64
	s_waitcnt lgkmcnt(1)
	v_cmp_lt_f64_e64 s[18:19], v[2:3], v[4:5]
	v_cmp_nlt_f64_e32 vcc, v[2:3], v[4:5]
	s_and_saveexec_b64 s[60:61], vcc
	s_cbranch_execz .LBB7_102
; %bb.101:                              ;   in Loop: Header=BB7_5 Depth=1
	v_cmp_eq_f64_e32 vcc, v[2:3], v[4:5]
	s_waitcnt lgkmcnt(0)
	v_cmp_gt_i32_e64 s[6:7], v6, v7
	s_and_b64 s[6:7], vcc, s[6:7]
	s_andn2_b64 s[18:19], s[18:19], exec
	s_and_b64 s[6:7], s[6:7], exec
	s_or_b64 s[18:19], s[18:19], s[6:7]
.LBB7_102:                              ;   in Loop: Header=BB7_5 Depth=1
	s_or_b64 exec, exec, s[60:61]
	s_and_saveexec_b64 s[6:7], s[18:19]
	s_cbranch_execz .LBB7_104
; %bb.103:                              ;   in Loop: Header=BB7_5 Depth=1
	s_waitcnt lgkmcnt(0)
	v_mov_b32_e32 v6, v7
	v_pk_mov_b32 v[2:3], v[4:5], v[4:5] op_sel:[0,1]
	ds_write_b64 v24, v[4:5]
	ds_write_b32 v25, v7
.LBB7_104:                              ;   in Loop: Header=BB7_5 Depth=1
	s_or_b64 exec, exec, s[6:7]
	ds_read_b64 v[4:5], v24 offset:64
	s_waitcnt lgkmcnt(1)
	ds_read_b32 v7, v25 offset:32
	s_waitcnt lgkmcnt(1)
	v_cmp_lt_f64_e64 s[18:19], v[2:3], v[4:5]
	v_cmp_nlt_f64_e32 vcc, v[2:3], v[4:5]
	s_and_saveexec_b64 s[60:61], vcc
	s_cbranch_execz .LBB7_106
; %bb.105:                              ;   in Loop: Header=BB7_5 Depth=1
	v_cmp_eq_f64_e32 vcc, v[2:3], v[4:5]
	s_waitcnt lgkmcnt(0)
	v_cmp_gt_i32_e64 s[6:7], v6, v7
	s_and_b64 s[6:7], vcc, s[6:7]
	s_andn2_b64 s[18:19], s[18:19], exec
	s_and_b64 s[6:7], s[6:7], exec
	s_or_b64 s[18:19], s[18:19], s[6:7]
.LBB7_106:                              ;   in Loop: Header=BB7_5 Depth=1
	s_or_b64 exec, exec, s[60:61]
	s_and_saveexec_b64 s[6:7], s[18:19]
	s_cbranch_execz .LBB7_108
; %bb.107:                              ;   in Loop: Header=BB7_5 Depth=1
	s_waitcnt lgkmcnt(0)
	v_mov_b32_e32 v6, v7
	v_pk_mov_b32 v[2:3], v[4:5], v[4:5] op_sel:[0,1]
	ds_write_b64 v24, v[4:5]
	ds_write_b32 v25, v7
.LBB7_108:                              ;   in Loop: Header=BB7_5 Depth=1
	;; [unrolled: 28-line block ×4, first 2 shown]
	s_or_b64 exec, exec, s[6:7]
	ds_read_b64 v[4:5], v24 offset:8
	s_waitcnt lgkmcnt(1)
	ds_read_b32 v7, v25 offset:4
	s_waitcnt lgkmcnt(1)
	v_cmp_eq_f64_e64 s[6:7], v[2:3], v[4:5]
	s_waitcnt lgkmcnt(0)
	v_cmp_gt_i32_e64 s[18:19], v6, v7
	v_cmp_lt_f64_e32 vcc, v[2:3], v[4:5]
	s_and_b64 s[6:7], s[6:7], s[18:19]
	s_or_b64 s[6:7], vcc, s[6:7]
	s_and_b64 exec, exec, s[6:7]
	s_cbranch_execz .LBB7_118
; %bb.117:                              ;   in Loop: Header=BB7_5 Depth=1
	ds_write_b64 v24, v[4:5]
	ds_write_b32 v25, v7
.LBB7_118:                              ;   in Loop: Header=BB7_5 Depth=1
	s_or_b64 exec, exec, s[20:21]
.LBB7_119:                              ;   in Loop: Header=BB7_5 Depth=1
	s_and_saveexec_b64 s[6:7], s[16:17]
	s_cbranch_execz .LBB7_121
; %bb.120:                              ;   in Loop: Header=BB7_5 Depth=1
	ds_read_b64 v[2:3], v11
	s_waitcnt lgkmcnt(0)
	ds_write_b64 v11, v[2:3] offset:3088
.LBB7_121:                              ;   in Loop: Header=BB7_5 Depth=1
	s_or_b64 exec, exec, s[6:7]
	ds_read_b32 v7, v11 offset:3096
	s_waitcnt lgkmcnt(0)
	v_cmp_gt_i32_e32 vcc, 1, v7
	s_cbranch_vccnz .LBB7_164
; %bb.122:                              ;   in Loop: Header=BB7_5 Depth=1
	v_cmp_gt_i32_e32 vcc, v7, v1
	v_pk_mov_b32 v[2:3], 0, 0
	v_bfrev_b32_e32 v6, -2
	s_and_saveexec_b64 s[60:61], vcc
	s_cbranch_execz .LBB7_126
; %bb.123:                              ;   in Loop: Header=BB7_5 Depth=1
	s_lshl_b64 s[6:7], s[58:59], 4
	v_mov_b32_e32 v2, s7
	v_add_co_u32_e32 v4, vcc, s6, v29
	v_addc_co_u32_e32 v5, vcc, v30, v2, vcc
	s_mov_b64 s[62:63], 0
	v_pk_mov_b32 v[2:3], 0, 0
	v_bfrev_b32_e32 v6, -2
	v_mov_b32_e32 v8, v1
.LBB7_124:                              ;   Parent Loop BB7_5 Depth=1
                                        ; =>  This Inner Loop Header: Depth=2
	global_load_dwordx4 v[12:15], v[4:5], off offset:-8
	v_add_co_u32_e32 v4, vcc, 0x1000, v4
	v_cmp_eq_u32_e64 s[6:7], s92, v6
	v_add_u32_e32 v9, 1, v8
	v_add_u32_e32 v8, 0x100, v8
	v_addc_co_u32_e32 v5, vcc, 0, v5, vcc
	v_cmp_ge_i32_e32 vcc, v8, v7
	s_waitcnt vmcnt(0)
	v_xor_b32_e32 v10, 0x80000000, v13
	v_xor_b32_e32 v16, 0x80000000, v15
	v_cmp_gt_f64_e64 s[18:19], 0, v[14:15]
	v_cmp_gt_f64_e64 s[20:21], 0, v[12:13]
	v_cndmask_b32_e64 v13, v13, v10, s[20:21]
	v_cndmask_b32_e64 v15, v15, v16, s[18:19]
	v_add_f64 v[12:13], v[12:13], v[14:15]
	v_cmp_lt_f64_e64 s[18:19], v[2:3], v[12:13]
	s_or_b64 s[6:7], s[18:19], s[6:7]
	v_cndmask_b32_e64 v6, v6, v9, s[6:7]
	v_cndmask_b32_e64 v3, v3, v13, s[6:7]
	s_or_b64 s[62:63], vcc, s[62:63]
	v_cndmask_b32_e64 v2, v2, v12, s[6:7]
	s_andn2_b64 exec, exec, s[62:63]
	s_cbranch_execnz .LBB7_124
; %bb.125:                              ;   in Loop: Header=BB7_5 Depth=1
	s_or_b64 exec, exec, s[62:63]
.LBB7_126:                              ;   in Loop: Header=BB7_5 Depth=1
	s_or_b64 exec, exec, s[60:61]
	v_cmp_eq_u32_e32 vcc, 1, v7
	s_and_b64 vcc, exec, vcc
	ds_write_b64 v24, v[2:3]
	ds_write_b32 v25, v6
	s_waitcnt lgkmcnt(0)
	s_barrier
	s_cbranch_vccnz .LBB7_161
; %bb.127:                              ;   in Loop: Header=BB7_5 Depth=1
	s_and_saveexec_b64 s[18:19], s[8:9]
	s_cbranch_execz .LBB7_133
; %bb.128:                              ;   in Loop: Header=BB7_5 Depth=1
	ds_read_b64 v[4:5], v24 offset:1024
	ds_read_b32 v7, v25 offset:512
	s_waitcnt lgkmcnt(1)
	v_cmp_lt_f64_e64 s[20:21], v[2:3], v[4:5]
	v_cmp_nlt_f64_e32 vcc, v[2:3], v[4:5]
	s_and_saveexec_b64 s[60:61], vcc
	s_cbranch_execz .LBB7_130
; %bb.129:                              ;   in Loop: Header=BB7_5 Depth=1
	v_cmp_eq_f64_e32 vcc, v[2:3], v[4:5]
	s_waitcnt lgkmcnt(0)
	v_cmp_gt_i32_e64 s[6:7], v6, v7
	s_and_b64 s[6:7], vcc, s[6:7]
	s_andn2_b64 s[20:21], s[20:21], exec
	s_and_b64 s[6:7], s[6:7], exec
	s_or_b64 s[20:21], s[20:21], s[6:7]
.LBB7_130:                              ;   in Loop: Header=BB7_5 Depth=1
	s_or_b64 exec, exec, s[60:61]
	s_and_saveexec_b64 s[6:7], s[20:21]
	s_cbranch_execz .LBB7_132
; %bb.131:                              ;   in Loop: Header=BB7_5 Depth=1
	v_pk_mov_b32 v[2:3], v[4:5], v[4:5] op_sel:[0,1]
	s_waitcnt lgkmcnt(0)
	v_mov_b32_e32 v6, v7
	ds_write_b64 v24, v[4:5]
	ds_write_b32 v25, v7
.LBB7_132:                              ;   in Loop: Header=BB7_5 Depth=1
	s_or_b64 exec, exec, s[6:7]
.LBB7_133:                              ;   in Loop: Header=BB7_5 Depth=1
	s_or_b64 exec, exec, s[18:19]
	s_waitcnt lgkmcnt(0)
	s_barrier
	s_and_saveexec_b64 s[20:21], s[10:11]
	s_cbranch_execz .LBB7_160
; %bb.134:                              ;   in Loop: Header=BB7_5 Depth=1
	ds_read_b64 v[4:5], v24 offset:512
	ds_read_b32 v7, v25 offset:256
	s_waitcnt lgkmcnt(1)
	v_cmp_lt_f64_e64 s[18:19], v[2:3], v[4:5]
	v_cmp_nlt_f64_e32 vcc, v[2:3], v[4:5]
	s_and_saveexec_b64 s[60:61], vcc
	s_cbranch_execz .LBB7_136
; %bb.135:                              ;   in Loop: Header=BB7_5 Depth=1
	v_cmp_eq_f64_e32 vcc, v[2:3], v[4:5]
	s_waitcnt lgkmcnt(0)
	v_cmp_gt_i32_e64 s[6:7], v6, v7
	s_and_b64 s[6:7], vcc, s[6:7]
	s_andn2_b64 s[18:19], s[18:19], exec
	s_and_b64 s[6:7], s[6:7], exec
	s_or_b64 s[18:19], s[18:19], s[6:7]
.LBB7_136:                              ;   in Loop: Header=BB7_5 Depth=1
	s_or_b64 exec, exec, s[60:61]
	s_and_saveexec_b64 s[6:7], s[18:19]
	s_cbranch_execz .LBB7_138
; %bb.137:                              ;   in Loop: Header=BB7_5 Depth=1
	s_waitcnt lgkmcnt(0)
	v_mov_b32_e32 v6, v7
	v_pk_mov_b32 v[2:3], v[4:5], v[4:5] op_sel:[0,1]
	ds_write_b64 v24, v[4:5]
	ds_write_b32 v25, v7
.LBB7_138:                              ;   in Loop: Header=BB7_5 Depth=1
	s_or_b64 exec, exec, s[6:7]
	ds_read_b64 v[4:5], v24 offset:256
	s_waitcnt lgkmcnt(1)
	ds_read_b32 v7, v25 offset:128
	s_waitcnt lgkmcnt(1)
	v_cmp_lt_f64_e64 s[18:19], v[2:3], v[4:5]
	v_cmp_nlt_f64_e32 vcc, v[2:3], v[4:5]
	s_and_saveexec_b64 s[60:61], vcc
	s_cbranch_execz .LBB7_140
; %bb.139:                              ;   in Loop: Header=BB7_5 Depth=1
	v_cmp_eq_f64_e32 vcc, v[2:3], v[4:5]
	s_waitcnt lgkmcnt(0)
	v_cmp_gt_i32_e64 s[6:7], v6, v7
	s_and_b64 s[6:7], vcc, s[6:7]
	s_andn2_b64 s[18:19], s[18:19], exec
	s_and_b64 s[6:7], s[6:7], exec
	s_or_b64 s[18:19], s[18:19], s[6:7]
.LBB7_140:                              ;   in Loop: Header=BB7_5 Depth=1
	s_or_b64 exec, exec, s[60:61]
	s_and_saveexec_b64 s[6:7], s[18:19]
	s_cbranch_execz .LBB7_142
; %bb.141:                              ;   in Loop: Header=BB7_5 Depth=1
	s_waitcnt lgkmcnt(0)
	v_mov_b32_e32 v6, v7
	v_pk_mov_b32 v[2:3], v[4:5], v[4:5] op_sel:[0,1]
	ds_write_b64 v24, v[4:5]
	ds_write_b32 v25, v7
.LBB7_142:                              ;   in Loop: Header=BB7_5 Depth=1
	s_or_b64 exec, exec, s[6:7]
	ds_read_b64 v[4:5], v24 offset:128
	s_waitcnt lgkmcnt(1)
	;; [unrolled: 28-line block ×6, first 2 shown]
	ds_read_b32 v7, v25 offset:4
	s_waitcnt lgkmcnt(1)
	v_cmp_eq_f64_e64 s[6:7], v[2:3], v[4:5]
	s_waitcnt lgkmcnt(0)
	v_cmp_gt_i32_e64 s[18:19], v6, v7
	v_cmp_lt_f64_e32 vcc, v[2:3], v[4:5]
	s_and_b64 s[6:7], s[6:7], s[18:19]
	s_or_b64 s[6:7], vcc, s[6:7]
	s_and_b64 exec, exec, s[6:7]
	s_cbranch_execz .LBB7_160
; %bb.159:                              ;   in Loop: Header=BB7_5 Depth=1
	ds_write_b64 v24, v[4:5]
	ds_write_b32 v25, v7
.LBB7_160:                              ;   in Loop: Header=BB7_5 Depth=1
	s_or_b64 exec, exec, s[20:21]
.LBB7_161:                              ;   in Loop: Header=BB7_5 Depth=1
	s_and_saveexec_b64 s[6:7], s[16:17]
	s_cbranch_execz .LBB7_163
; %bb.162:                              ;   in Loop: Header=BB7_5 Depth=1
	ds_read_b64 v[2:3], v11 offset:3088
	ds_read_b64 v[4:5], v11
	s_waitcnt lgkmcnt(0)
	v_cmp_lt_f64_e32 vcc, v[2:3], v[4:5]
	v_cndmask_b32_e32 v3, v3, v5, vcc
	v_cndmask_b32_e32 v2, v2, v4, vcc
	ds_write_b64 v11, v[2:3] offset:3088
.LBB7_163:                              ;   in Loop: Header=BB7_5 Depth=1
	s_or_b64 exec, exec, s[6:7]
.LBB7_164:                              ;   in Loop: Header=BB7_5 Depth=1
	s_waitcnt lgkmcnt(0)
	s_barrier
	ds_read_b128 v[4:7], v11 offset:3072
	ds_read_b64 v[2:3], v11 offset:3088
	s_waitcnt lgkmcnt(1)
	v_mul_f64 v[14:15], v[6:7], s[52:53]
	s_waitcnt lgkmcnt(0)
	v_div_scale_f64 v[8:9], s[6:7], v[2:3], v[2:3], v[6:7]
	v_rcp_f64_e32 v[12:13], v[8:9]
	v_fma_f64 v[16:17], -v[8:9], v[12:13], 1.0
	v_fmac_f64_e32 v[12:13], v[12:13], v[16:17]
	v_fma_f64 v[16:17], -v[8:9], v[12:13], 1.0
	v_fmac_f64_e32 v[12:13], v[12:13], v[16:17]
	v_div_scale_f64 v[16:17], vcc, v[6:7], v[2:3], v[6:7]
	v_mul_f64 v[18:19], v[16:17], v[12:13]
	v_fma_f64 v[8:9], -v[8:9], v[18:19], v[16:17]
	s_nop 1
	v_div_fmas_f64 v[8:9], v[8:9], v[12:13], v[18:19]
	v_div_fixup_f64 v[6:7], v[8:9], v[2:3], v[6:7]
	v_mul_f64 v[6:7], v[14:15], v[6:7]
	v_cmp_ge_f64_e32 vcc, v[4:5], v[6:7]
	s_cbranch_vccnz .LBB7_170
; %bb.165:                              ;   in Loop: Header=BB7_5 Depth=1
	ds_read_b32 v8, v11 offset:3096
	v_mul_f64 v[2:3], v[2:3], s[52:53]
	s_waitcnt lgkmcnt(0)
	v_readfirstlane_b32 s6, v8
	s_add_i32 s6, s6, s58
	s_ashr_i32 s7, s6, 31
	s_lshl_b64 s[6:7], s[6:7], 4
	s_add_u32 s6, s67, s6
	s_addc_u32 s7, s68, s7
	global_load_dwordx4 v[4:7], v11, s[6:7]
	v_readfirstlane_b32 s57, v8
	s_waitcnt vmcnt(0)
	v_xor_b32_e32 v8, 0x80000000, v5
	v_cmp_gt_f64_e32 vcc, 0, v[4:5]
	v_xor_b32_e32 v9, 0x80000000, v7
	v_cndmask_b32_e32 v5, v5, v8, vcc
	v_cmp_gt_f64_e32 vcc, 0, v[6:7]
	v_cndmask_b32_e32 v7, v7, v9, vcc
	v_add_f64 v[4:5], v[4:5], v[6:7]
	v_cmp_nge_f64_e32 vcc, v[4:5], v[2:3]
	s_cbranch_vccnz .LBB7_193
; %bb.166:                              ;   in Loop: Header=BB7_5 Depth=1
	s_and_saveexec_b64 s[6:7], s[14:15]
	s_cbranch_execz .LBB7_169
; %bb.167:                              ;   in Loop: Header=BB7_5 Depth=1
	v_add_u32_e32 v2, s56, v1
	v_ashrrev_i32_e32 v3, 31, v2
	v_lshlrev_b64 v[2:3], 4, v[2:3]
	v_add_u32_e32 v4, s58, v1
	v_mov_b32_e32 v6, s82
	v_add_co_u32_e32 v2, vcc, s81, v2
	v_ashrrev_i32_e32 v5, 31, v4
	v_addc_co_u32_e32 v3, vcc, v6, v3, vcc
	v_lshlrev_b64 v[4:5], 4, v[4:5]
	v_add_co_u32_e32 v4, vcc, s81, v4
	v_addc_co_u32_e32 v5, vcc, v6, v5, vcc
	s_mov_b64 s[14:15], 0
	v_mov_b32_e32 v6, v1
.LBB7_168:                              ;   Parent Loop BB7_5 Depth=1
                                        ; =>  This Inner Loop Header: Depth=2
	global_load_dwordx4 v[12:15], v[4:5], off
	v_add_u32_e32 v6, 0x100, v6
	v_cmp_lt_i32_e32 vcc, s22, v6
	s_or_b64 s[14:15], vcc, s[14:15]
	s_waitcnt vmcnt(0)
	global_store_dwordx4 v[2:3], v[12:15], off
	v_add_co_u32_e32 v2, vcc, 0x1000, v2
	v_addc_co_u32_e32 v3, vcc, 0, v3, vcc
	v_add_co_u32_e32 v4, vcc, 0x1000, v4
	v_addc_co_u32_e32 v5, vcc, 0, v5, vcc
	s_andn2_b64 exec, exec, s[14:15]
	s_cbranch_execnz .LBB7_168
.LBB7_169:                              ;   in Loop: Header=BB7_5 Depth=1
	s_or_b64 exec, exec, s[6:7]
	s_mov_b64 s[14:15], -1
	s_mov_b32 s6, -1
	s_barrier
	s_add_i32 s23, s6, s22
	s_add_i32 s58, s23, 1
	s_cmp_eq_u32 s57, s58
	s_cbranch_scc0 .LBB7_171
	s_branch .LBB7_186
.LBB7_170:                              ;   in Loop: Header=BB7_5 Depth=1
	s_mov_b64 s[14:15], -1
	s_mov_b32 s6, -1
	s_mov_b32 s57, s22
	s_add_i32 s23, s6, s22
	s_add_i32 s58, s23, 1
	s_cmp_eq_u32 s57, s58
	s_cbranch_scc1 .LBB7_186
.LBB7_171:                              ;   in Loop: Header=BB7_5 Depth=1
	s_and_saveexec_b64 s[6:7], s[16:17]
	s_cbranch_execz .LBB7_173
; %bb.172:                              ;   in Loop: Header=BB7_5 Depth=1
	s_mul_i32 s18, s58, s71
	s_ashr_i32 s19, s18, 31
	s_lshl_b64 s[18:19], s[18:19], 4
	s_add_u32 s18, s33, s18
	s_addc_u32 s19, s34, s19
	global_load_dwordx4 v[2:5], v11, s[18:19]
	s_mul_i32 s18, s57, s71
	s_ashr_i32 s19, s18, 31
	s_lshl_b64 s[18:19], s[18:19], 4
	s_add_u32 s18, s33, s18
	s_addc_u32 s19, s34, s19
	s_waitcnt vmcnt(0)
	global_store_dwordx4 v11, v[2:5], s[18:19]
.LBB7_173:                              ;   in Loop: Header=BB7_5 Depth=1
	s_or_b64 exec, exec, s[6:7]
	s_sub_i32 s60, s23, s57
	v_cmp_gt_i32_e32 vcc, s60, v1
	s_mul_i32 s59, s58, s35
	s_and_saveexec_b64 s[18:19], vcc
	s_cbranch_execz .LBB7_176
; %bb.174:                              ;   in Loop: Header=BB7_5 Depth=1
	v_add_u32_e32 v2, s57, v22
	s_add_i32 s61, s57, s59
	v_mul_lo_u32 v2, s35, v2
	v_add_u32_e32 v2, s57, v2
	s_add_i32 s61, s61, 1
	s_mov_b64 s[20:21], 0
	v_mov_b32_e32 v4, v1
.LBB7_175:                              ;   Parent Loop BB7_5 Depth=1
                                        ; =>  This Inner Loop Header: Depth=2
	v_add_u32_e32 v6, s61, v4
	v_ashrrev_i32_e32 v7, 31, v6
	v_lshlrev_b64 v[6:7], 4, v[6:7]
	v_mov_b32_e32 v5, s34
	v_add_co_u32_e32 v6, vcc, s33, v6
	v_addc_co_u32_e32 v7, vcc, v5, v7, vcc
	global_load_dwordx4 v[6:9], v[6:7], off
	v_ashrrev_i32_e32 v3, 31, v2
	v_add_u32_e32 v4, 0x100, v4
	v_lshlrev_b64 v[12:13], 4, v[2:3]
	v_cmp_le_i32_e32 vcc, s60, v4
	v_add_co_u32_e64 v12, s[6:7], s33, v12
	v_add_u32_e32 v2, s89, v2
	v_addc_co_u32_e64 v13, s[6:7], v5, v13, s[6:7]
	s_or_b64 s[20:21], vcc, s[20:21]
	s_waitcnt vmcnt(0)
	global_store_dwordx4 v[12:13], v[6:9], off
	s_andn2_b64 exec, exec, s[20:21]
	s_cbranch_execnz .LBB7_175
.LBB7_176:                              ;   in Loop: Header=BB7_5 Depth=1
	s_or_b64 exec, exec, s[18:19]
	v_cmp_gt_i32_e32 vcc, s57, v1
	s_and_saveexec_b64 s[6:7], vcc
	s_cbranch_execz .LBB7_179
; %bb.177:                              ;   in Loop: Header=BB7_5 Depth=1
	s_mul_i32 s18, s57, s35
	v_add_u32_e32 v2, s18, v1
	v_ashrrev_i32_e32 v3, 31, v2
	v_lshlrev_b64 v[2:3], 4, v[2:3]
	v_add_u32_e32 v4, s59, v1
	v_mov_b32_e32 v6, s84
	v_add_co_u32_e32 v2, vcc, s83, v2
	v_ashrrev_i32_e32 v5, 31, v4
	v_addc_co_u32_e32 v3, vcc, v6, v3, vcc
	v_lshlrev_b64 v[4:5], 4, v[4:5]
	v_add_co_u32_e32 v4, vcc, s83, v4
	v_addc_co_u32_e32 v5, vcc, v6, v5, vcc
	s_mov_b64 s[18:19], 0
	v_mov_b32_e32 v6, v1
.LBB7_178:                              ;   Parent Loop BB7_5 Depth=1
                                        ; =>  This Inner Loop Header: Depth=2
	global_load_dwordx4 v[12:15], v[4:5], off
	v_add_u32_e32 v6, 0x100, v6
	v_cmp_le_i32_e32 vcc, s57, v6
	s_or_b64 s[18:19], vcc, s[18:19]
	s_waitcnt vmcnt(0)
	global_store_dwordx4 v[2:3], v[12:15], off
	v_add_co_u32_e32 v2, vcc, 0x1000, v2
	v_addc_co_u32_e32 v3, vcc, 0, v3, vcc
	v_add_co_u32_e32 v4, vcc, 0x1000, v4
	v_addc_co_u32_e32 v5, vcc, 0, v5, vcc
	s_andn2_b64 exec, exec, s[18:19]
	s_cbranch_execnz .LBB7_178
.LBB7_179:                              ;   in Loop: Header=BB7_5 Depth=1
	s_or_b64 exec, exec, s[6:7]
	s_not_b32 s20, s22
	s_add_i32 s20, s20, s36
	v_cmp_gt_i32_e32 vcc, s20, v1
	s_barrier
	s_and_saveexec_b64 s[6:7], vcc
	s_cbranch_execz .LBB7_182
; %bb.180:                              ;   in Loop: Header=BB7_5 Depth=1
	v_add_u32_e32 v2, s22, v22
	s_ashr_i32 s21, s23, 31
	v_mul_lo_u32 v2, s35, v2
	s_mov_b64 s[18:19], 0
	v_mov_b32_e32 v3, v1
.LBB7_181:                              ;   Parent Loop BB7_5 Depth=1
                                        ; =>  This Inner Loop Header: Depth=2
	v_ashrrev_i32_e32 v5, 31, v2
	v_mov_b32_e32 v7, s21
	v_add_co_u32_e32 v6, vcc, s23, v2
	v_addc_co_u32_e32 v7, vcc, v5, v7, vcc
	v_add_u32_e32 v4, s57, v2
	v_lshlrev_b64 v[6:7], 4, v[6:7]
	v_mov_b32_e32 v9, s74
	v_ashrrev_i32_e32 v5, 31, v4
	v_add_co_u32_e32 v8, vcc, s73, v6
	v_lshlrev_b64 v[4:5], 4, v[4:5]
	v_addc_co_u32_e32 v9, vcc, v9, v7, vcc
	v_mov_b32_e32 v10, s34
	v_add_co_u32_e32 v16, vcc, s33, v4
	v_addc_co_u32_e32 v17, vcc, v10, v5, vcc
	global_load_dwordx4 v[4:7], v[16:17], off
	global_load_dwordx4 v[12:15], v[8:9], off
	v_add_u32_e32 v3, 0x100, v3
	v_cmp_le_i32_e32 vcc, s20, v3
	v_add_u32_e32 v2, s89, v2
	s_or_b64 s[18:19], vcc, s[18:19]
	s_waitcnt vmcnt(1)
	global_store_dwordx4 v[8:9], v[4:7], off
	s_waitcnt vmcnt(1)
	global_store_dwordx4 v[16:17], v[12:15], off
	s_andn2_b64 exec, exec, s[18:19]
	s_cbranch_execnz .LBB7_181
.LBB7_182:                              ;   in Loop: Header=BB7_5 Depth=1
	s_or_b64 exec, exec, s[6:7]
	s_sub_i32 s20, s36, s58
	v_cmp_gt_i32_e32 vcc, s20, v1
	s_and_saveexec_b64 s[6:7], vcc
	s_cbranch_execz .LBB7_185
; %bb.183:                              ;   in Loop: Header=BB7_5 Depth=1
	v_add_u32_e32 v2, s23, v33
	s_ashr_i32 s21, s23, 31
	v_mul_lo_u32 v2, s36, v2
	s_mov_b64 s[18:19], 0
	v_mov_b32_e32 v3, v1
.LBB7_184:                              ;   Parent Loop BB7_5 Depth=1
                                        ; =>  This Inner Loop Header: Depth=2
	v_ashrrev_i32_e32 v5, 31, v2
	v_mov_b32_e32 v7, s21
	v_add_co_u32_e32 v6, vcc, s23, v2
	v_addc_co_u32_e32 v7, vcc, v5, v7, vcc
	v_add_u32_e32 v4, s57, v2
	v_lshlrev_b64 v[6:7], 4, v[6:7]
	v_mov_b32_e32 v9, s76
	v_ashrrev_i32_e32 v5, 31, v4
	v_add_co_u32_e32 v8, vcc, s75, v6
	v_lshlrev_b64 v[4:5], 4, v[4:5]
	v_addc_co_u32_e32 v9, vcc, v9, v7, vcc
	v_mov_b32_e32 v10, s68
	v_add_co_u32_e32 v16, vcc, s67, v4
	v_addc_co_u32_e32 v17, vcc, v10, v5, vcc
	global_load_dwordx4 v[4:7], v[16:17], off
	global_load_dwordx4 v[12:15], v[8:9], off
	v_add_u32_e32 v3, 0x100, v3
	v_cmp_le_i32_e32 vcc, s20, v3
	v_add_u32_e32 v2, s90, v2
	s_or_b64 s[18:19], vcc, s[18:19]
	s_waitcnt vmcnt(1)
	global_store_dwordx4 v[8:9], v[4:7], off
	s_waitcnt vmcnt(1)
	global_store_dwordx4 v[16:17], v[12:15], off
	s_andn2_b64 exec, exec, s[18:19]
	s_cbranch_execnz .LBB7_184
.LBB7_185:                              ;   in Loop: Header=BB7_5 Depth=1
	s_or_b64 exec, exec, s[6:7]
	s_barrier
.LBB7_186:                              ;   in Loop: Header=BB7_5 Depth=1
	s_xor_b64 s[14:15], s[14:15], -1
	s_mov_b64 s[6:7], -1
	s_and_b64 vcc, exec, s[14:15]
                                        ; implicit-def: $sgpr18
	s_cbranch_vccnz .LBB7_190
; %bb.187:                              ;   in Loop: Header=BB7_5 Depth=1
	s_and_b64 vcc, exec, s[6:7]
	s_cbranch_vccnz .LBB7_211
.LBB7_188:                              ;   in Loop: Header=BB7_5 Depth=1
.LBB7_189:                              ;   in Loop: Header=BB7_5 Depth=1
	s_and_saveexec_b64 s[12:13], s[16:17]
	s_cbranch_execz .LBB7_4
	s_branch .LBB7_224
.LBB7_190:                              ;   in Loop: Header=BB7_5 Depth=1
	s_cmp_lt_i32 s22, 2
	s_cbranch_scc1 .LBB7_208
; %bb.191:                              ;   in Loop: Header=BB7_5 Depth=1
	s_ashr_i32 s7, s56, 31
	s_ashr_i32 s19, s22, 31
	s_add_u32 s6, s56, s22
	s_addc_u32 s7, s7, s19
	s_lshl_b64 s[6:7], s[6:7], 4
	s_add_u32 s6, s77, s6
	s_addc_u32 s7, s78, s7
	global_load_dwordx4 v[2:5], v11, s[6:7]
	s_add_i32 s6, s56, s22
	s_ashr_i32 s7, s6, 31
	s_lshl_b64 s[6:7], s[6:7], 4
	s_add_u32 s6, s67, s6
	s_addc_u32 s7, s68, s7
	global_load_dwordx4 v[6:9], v11, s[6:7]
	s_waitcnt vmcnt(1)
	v_xor_b32_e32 v10, 0x80000000, v3
	v_cmp_gt_f64_e32 vcc, 0, v[2:3]
	v_xor_b32_e32 v14, 0x80000000, v5
	v_cndmask_b32_e32 v13, v3, v10, vcc
	v_cmp_gt_f64_e32 vcc, 0, v[4:5]
	v_mov_b32_e32 v12, v2
	v_cndmask_b32_e32 v15, v5, v14, vcc
	v_mov_b32_e32 v14, v4
	v_cmp_ngt_f64_e64 s[14:15], v[12:13], v[14:15]
	s_and_b64 vcc, exec, s[14:15]
	s_cbranch_vccz .LBB7_194
; %bb.192:                              ;   in Loop: Header=BB7_5 Depth=1
	v_div_scale_f64 v[12:13], s[6:7], v[4:5], v[4:5], v[2:3]
	v_rcp_f64_e32 v[14:15], v[12:13]
	v_div_scale_f64 v[16:17], vcc, v[2:3], v[4:5], v[2:3]
	v_fma_f64 v[18:19], -v[12:13], v[14:15], 1.0
	v_fmac_f64_e32 v[14:15], v[14:15], v[18:19]
	v_fma_f64 v[18:19], -v[12:13], v[14:15], 1.0
	v_fmac_f64_e32 v[14:15], v[14:15], v[18:19]
	v_mul_f64 v[18:19], v[16:17], v[14:15]
	v_fma_f64 v[12:13], -v[12:13], v[18:19], v[16:17]
	v_div_fmas_f64 v[12:13], v[12:13], v[14:15], v[18:19]
	v_div_fixup_f64 v[14:15], v[12:13], v[4:5], v[2:3]
	v_fma_f64 v[12:13], v[2:3], v[14:15], v[4:5]
	v_div_scale_f64 v[16:17], s[6:7], v[12:13], v[12:13], 1.0
	v_rcp_f64_e32 v[18:19], v[16:17]
	v_fma_f64 v[20:21], -v[16:17], v[18:19], 1.0
	v_fmac_f64_e32 v[18:19], v[18:19], v[20:21]
	v_fma_f64 v[20:21], -v[16:17], v[18:19], 1.0
	v_fmac_f64_e32 v[18:19], v[18:19], v[20:21]
	v_div_scale_f64 v[20:21], vcc, 1.0, v[12:13], 1.0
	v_mul_f64 v[36:37], v[20:21], v[18:19]
	v_fma_f64 v[16:17], -v[16:17], v[36:37], v[20:21]
	s_nop 1
	v_div_fmas_f64 v[16:17], v[16:17], v[18:19], v[36:37]
	v_div_fixup_f64 v[16:17], v[16:17], v[12:13], 1.0
	s_waitcnt vmcnt(0)
	v_fma_f64 v[12:13], v[14:15], v[6:7], v[8:9]
	v_fma_f64 v[14:15], v[14:15], v[8:9], -v[6:7]
	v_mul_f64 v[12:13], v[12:13], v[16:17]
	v_mul_f64 v[14:15], v[16:17], v[14:15]
	s_cbranch_execz .LBB7_195
	s_branch .LBB7_196
.LBB7_193:                              ;   in Loop: Header=BB7_5 Depth=1
	s_mov_b64 s[14:15], 0
	s_mov_b32 s6, -2
	s_add_i32 s23, s6, s22
	s_add_i32 s58, s23, 1
	s_cmp_eq_u32 s57, s58
	s_cbranch_scc0 .LBB7_171
	s_branch .LBB7_186
.LBB7_194:                              ;   in Loop: Header=BB7_5 Depth=1
                                        ; implicit-def: $vgpr12_vgpr13
                                        ; implicit-def: $vgpr14_vgpr15
.LBB7_195:                              ;   in Loop: Header=BB7_5 Depth=1
	v_div_scale_f64 v[12:13], s[6:7], v[2:3], v[2:3], v[4:5]
	v_rcp_f64_e32 v[14:15], v[12:13]
	v_div_scale_f64 v[16:17], vcc, v[4:5], v[2:3], v[4:5]
	v_fma_f64 v[18:19], -v[12:13], v[14:15], 1.0
	v_fmac_f64_e32 v[14:15], v[14:15], v[18:19]
	v_fma_f64 v[18:19], -v[12:13], v[14:15], 1.0
	v_fmac_f64_e32 v[14:15], v[14:15], v[18:19]
	v_mul_f64 v[18:19], v[16:17], v[14:15]
	v_fma_f64 v[12:13], -v[12:13], v[18:19], v[16:17]
	v_div_fmas_f64 v[12:13], v[12:13], v[14:15], v[18:19]
	v_div_fixup_f64 v[14:15], v[12:13], v[2:3], v[4:5]
	v_fma_f64 v[12:13], v[4:5], v[14:15], v[2:3]
	v_div_scale_f64 v[16:17], s[6:7], v[12:13], v[12:13], 1.0
	v_rcp_f64_e32 v[18:19], v[16:17]
	v_fma_f64 v[20:21], -v[16:17], v[18:19], 1.0
	v_fmac_f64_e32 v[18:19], v[18:19], v[20:21]
	v_fma_f64 v[20:21], -v[16:17], v[18:19], 1.0
	v_fmac_f64_e32 v[18:19], v[18:19], v[20:21]
	v_div_scale_f64 v[20:21], vcc, 1.0, v[12:13], 1.0
	v_mul_f64 v[36:37], v[20:21], v[18:19]
	v_fma_f64 v[16:17], -v[16:17], v[36:37], v[20:21]
	s_nop 1
	v_div_fmas_f64 v[16:17], v[16:17], v[18:19], v[36:37]
	v_div_fixup_f64 v[16:17], v[16:17], v[12:13], 1.0
	s_waitcnt vmcnt(0)
	v_fma_f64 v[12:13], v[14:15], v[8:9], v[6:7]
	v_fma_f64 v[6:7], -v[14:15], v[6:7], v[8:9]
	v_mul_f64 v[12:13], v[16:17], v[12:13]
	v_mul_f64 v[14:15], v[6:7], v[16:17]
.LBB7_196:                              ;   in Loop: Header=BB7_5 Depth=1
	s_add_i32 s18, s94, -1
	s_mul_i32 s18, s18, s36
	s_ashr_i32 s7, s18, 31
	s_add_u32 s6, s18, s22
	s_addc_u32 s7, s7, s19
	s_lshl_b64 s[6:7], s[6:7], 4
	s_add_u32 s6, s77, s6
	s_addc_u32 s7, s78, s7
	global_load_dwordx4 v[6:9], v11, s[6:7]
	s_and_b64 vcc, exec, s[14:15]
	s_cbranch_vccz .LBB7_198
; %bb.197:                              ;   in Loop: Header=BB7_5 Depth=1
	v_div_scale_f64 v[16:17], s[6:7], v[4:5], v[4:5], v[2:3]
	v_rcp_f64_e32 v[18:19], v[16:17]
	v_div_scale_f64 v[20:21], vcc, v[2:3], v[4:5], v[2:3]
	v_fma_f64 v[36:37], -v[16:17], v[18:19], 1.0
	v_fmac_f64_e32 v[18:19], v[18:19], v[36:37]
	v_fma_f64 v[36:37], -v[16:17], v[18:19], 1.0
	v_fmac_f64_e32 v[18:19], v[18:19], v[36:37]
	v_mul_f64 v[36:37], v[20:21], v[18:19]
	v_fma_f64 v[16:17], -v[16:17], v[36:37], v[20:21]
	v_div_fmas_f64 v[16:17], v[16:17], v[18:19], v[36:37]
	v_div_fixup_f64 v[18:19], v[16:17], v[4:5], v[2:3]
	v_fma_f64 v[16:17], v[2:3], v[18:19], v[4:5]
	v_div_scale_f64 v[20:21], s[6:7], v[16:17], v[16:17], 1.0
	v_rcp_f64_e32 v[36:37], v[20:21]
	v_fma_f64 v[38:39], -v[20:21], v[36:37], 1.0
	v_fmac_f64_e32 v[36:37], v[36:37], v[38:39]
	v_fma_f64 v[38:39], -v[20:21], v[36:37], 1.0
	v_fmac_f64_e32 v[36:37], v[36:37], v[38:39]
	v_div_scale_f64 v[38:39], vcc, 1.0, v[16:17], 1.0
	v_mul_f64 v[40:41], v[38:39], v[36:37]
	v_fma_f64 v[20:21], -v[20:21], v[40:41], v[38:39]
	s_nop 1
	v_div_fmas_f64 v[20:21], v[20:21], v[36:37], v[40:41]
	v_div_fixup_f64 v[20:21], v[20:21], v[16:17], 1.0
	s_waitcnt vmcnt(0)
	v_fma_f64 v[16:17], v[18:19], v[6:7], v[8:9]
	v_fma_f64 v[18:19], v[18:19], v[8:9], -v[6:7]
	v_mul_f64 v[16:17], v[20:21], v[16:17]
	v_mul_f64 v[18:19], v[20:21], v[18:19]
	s_cbranch_execz .LBB7_199
	s_branch .LBB7_200
.LBB7_198:                              ;   in Loop: Header=BB7_5 Depth=1
                                        ; implicit-def: $vgpr16_vgpr17
                                        ; implicit-def: $vgpr18_vgpr19
.LBB7_199:                              ;   in Loop: Header=BB7_5 Depth=1
	v_div_scale_f64 v[16:17], s[6:7], v[2:3], v[2:3], v[4:5]
	v_rcp_f64_e32 v[18:19], v[16:17]
	v_div_scale_f64 v[20:21], vcc, v[4:5], v[2:3], v[4:5]
	v_fma_f64 v[36:37], -v[16:17], v[18:19], 1.0
	v_fmac_f64_e32 v[18:19], v[18:19], v[36:37]
	v_fma_f64 v[36:37], -v[16:17], v[18:19], 1.0
	v_fmac_f64_e32 v[18:19], v[18:19], v[36:37]
	v_mul_f64 v[36:37], v[20:21], v[18:19]
	v_fma_f64 v[16:17], -v[16:17], v[36:37], v[20:21]
	v_div_fmas_f64 v[16:17], v[16:17], v[18:19], v[36:37]
	v_div_fixup_f64 v[18:19], v[16:17], v[2:3], v[4:5]
	v_fma_f64 v[16:17], v[4:5], v[18:19], v[2:3]
	v_div_scale_f64 v[20:21], s[6:7], v[16:17], v[16:17], 1.0
	v_rcp_f64_e32 v[36:37], v[20:21]
	v_fma_f64 v[38:39], -v[20:21], v[36:37], 1.0
	v_fmac_f64_e32 v[36:37], v[36:37], v[38:39]
	v_fma_f64 v[38:39], -v[20:21], v[36:37], 1.0
	v_fmac_f64_e32 v[36:37], v[36:37], v[38:39]
	v_div_scale_f64 v[38:39], vcc, 1.0, v[16:17], 1.0
	v_mul_f64 v[40:41], v[38:39], v[36:37]
	v_fma_f64 v[20:21], -v[20:21], v[40:41], v[38:39]
	s_nop 1
	v_div_fmas_f64 v[20:21], v[20:21], v[36:37], v[40:41]
	v_div_fixup_f64 v[20:21], v[20:21], v[16:17], 1.0
	s_waitcnt vmcnt(0)
	v_fma_f64 v[16:17], v[18:19], v[8:9], v[6:7]
	v_fma_f64 v[6:7], -v[18:19], v[6:7], v[8:9]
	v_mul_f64 v[16:17], v[20:21], v[16:17]
	v_mul_f64 v[18:19], v[20:21], v[6:7]
.LBB7_200:                              ;   in Loop: Header=BB7_5 Depth=1
	s_waitcnt vmcnt(0)
	v_mul_f64 v[6:7], v[14:15], v[18:19]
	v_mul_f64 v[20:21], v[14:15], v[16:17]
	v_fma_f64 v[6:7], v[12:13], v[16:17], -v[6:7]
	v_fmac_f64_e32 v[20:21], v[12:13], v[18:19]
	v_add_f64 v[8:9], v[6:7], -1.0
	v_mul_f64 v[6:7], v[4:5], v[20:21]
	v_fma_f64 v[6:7], v[2:3], v[8:9], -v[6:7]
	v_mul_f64 v[8:9], v[4:5], v[8:9]
	v_fmac_f64_e32 v[8:9], v[2:3], v[20:21]
	v_xor_b32_e32 v2, 0x80000000, v7
	v_cmp_gt_f64_e32 vcc, 0, v[6:7]
	v_cndmask_b32_e32 v3, v7, v2, vcc
	v_cndmask_b32_e32 v2, v6, v6, vcc
	v_xor_b32_e32 v4, 0x80000000, v9
	v_cmp_gt_f64_e32 vcc, 0, v[8:9]
	v_cndmask_b32_e32 v5, v9, v4, vcc
	v_cndmask_b32_e32 v4, v8, v8, vcc
	v_cmp_ngt_f64_e32 vcc, v[2:3], v[4:5]
	s_cbranch_vccz .LBB7_202
; %bb.201:                              ;   in Loop: Header=BB7_5 Depth=1
	v_div_scale_f64 v[2:3], s[6:7], v[8:9], v[8:9], v[6:7]
	v_rcp_f64_e32 v[4:5], v[2:3]
	v_div_scale_f64 v[20:21], vcc, v[6:7], v[8:9], v[6:7]
	v_fma_f64 v[36:37], -v[2:3], v[4:5], 1.0
	v_fmac_f64_e32 v[4:5], v[4:5], v[36:37]
	v_fma_f64 v[36:37], -v[2:3], v[4:5], 1.0
	v_fmac_f64_e32 v[4:5], v[4:5], v[36:37]
	v_mul_f64 v[36:37], v[20:21], v[4:5]
	v_fma_f64 v[2:3], -v[2:3], v[36:37], v[20:21]
	v_div_fmas_f64 v[2:3], v[2:3], v[4:5], v[36:37]
	v_div_fixup_f64 v[4:5], v[2:3], v[8:9], v[6:7]
	v_fma_f64 v[2:3], v[6:7], v[4:5], v[8:9]
	v_div_scale_f64 v[20:21], s[6:7], v[2:3], v[2:3], 1.0
	v_rcp_f64_e32 v[36:37], v[20:21]
	v_fma_f64 v[38:39], -v[20:21], v[36:37], 1.0
	v_fmac_f64_e32 v[36:37], v[36:37], v[38:39]
	v_fma_f64 v[38:39], -v[20:21], v[36:37], 1.0
	v_fmac_f64_e32 v[36:37], v[36:37], v[38:39]
	v_div_scale_f64 v[38:39], vcc, 1.0, v[2:3], 1.0
	v_mul_f64 v[40:41], v[38:39], v[36:37]
	v_fma_f64 v[20:21], -v[20:21], v[40:41], v[38:39]
	s_nop 1
	v_div_fmas_f64 v[20:21], v[20:21], v[36:37], v[40:41]
	v_div_fixup_f64 v[20:21], v[20:21], v[2:3], 1.0
	v_add_f64 v[2:3], v[4:5], 0
	v_fma_f64 v[4:5], v[4:5], 0, -1.0
	v_mul_f64 v[2:3], v[2:3], v[20:21]
	v_mul_f64 v[4:5], v[4:5], v[20:21]
	s_cbranch_execz .LBB7_203
	s_branch .LBB7_204
.LBB7_202:                              ;   in Loop: Header=BB7_5 Depth=1
                                        ; implicit-def: $vgpr2_vgpr3
                                        ; implicit-def: $vgpr4_vgpr5
.LBB7_203:                              ;   in Loop: Header=BB7_5 Depth=1
	v_div_scale_f64 v[2:3], s[6:7], v[6:7], v[6:7], v[8:9]
	v_rcp_f64_e32 v[4:5], v[2:3]
	v_div_scale_f64 v[20:21], vcc, v[8:9], v[6:7], v[8:9]
	v_fma_f64 v[36:37], -v[2:3], v[4:5], 1.0
	v_fmac_f64_e32 v[4:5], v[4:5], v[36:37]
	v_fma_f64 v[36:37], -v[2:3], v[4:5], 1.0
	v_fmac_f64_e32 v[4:5], v[4:5], v[36:37]
	v_mul_f64 v[36:37], v[20:21], v[4:5]
	v_fma_f64 v[2:3], -v[2:3], v[36:37], v[20:21]
	v_div_fmas_f64 v[2:3], v[2:3], v[4:5], v[36:37]
	v_div_fixup_f64 v[4:5], v[2:3], v[6:7], v[8:9]
	v_fmac_f64_e32 v[6:7], v[8:9], v[4:5]
	v_div_scale_f64 v[2:3], s[6:7], v[6:7], v[6:7], 1.0
	v_rcp_f64_e32 v[8:9], v[2:3]
	v_fma_f64 v[20:21], -v[2:3], v[8:9], 1.0
	v_fmac_f64_e32 v[8:9], v[8:9], v[20:21]
	v_fma_f64 v[20:21], -v[2:3], v[8:9], 1.0
	v_fmac_f64_e32 v[8:9], v[8:9], v[20:21]
	v_div_scale_f64 v[20:21], vcc, 1.0, v[6:7], 1.0
	v_mul_f64 v[36:37], v[20:21], v[8:9]
	v_fma_f64 v[2:3], -v[2:3], v[36:37], v[20:21]
	s_nop 1
	v_div_fmas_f64 v[2:3], v[2:3], v[8:9], v[36:37]
	v_div_fixup_f64 v[6:7], v[2:3], v[6:7], 1.0
	v_fma_f64 v[2:3], v[4:5], 0, 1.0
	v_add_f64 v[4:5], -v[4:5], 0
	v_mul_f64 v[2:3], v[2:3], v[6:7]
	v_mul_f64 v[4:5], v[4:5], v[6:7]
.LBB7_204:                              ;   in Loop: Header=BB7_5 Depth=1
	s_add_i32 s19, s22, -2
	v_cmp_ge_i32_e32 vcc, s19, v1
	s_and_saveexec_b64 s[6:7], vcc
	s_cbranch_execz .LBB7_207
; %bb.205:                              ;   in Loop: Header=BB7_5 Depth=1
	v_add_u32_e32 v6, s18, v1
	v_ashrrev_i32_e32 v7, 31, v6
	s_add_i32 s14, s22, -1
	v_lshlrev_b64 v[6:7], 4, v[6:7]
	s_mul_i32 s14, s14, s35
	v_mov_b32_e32 v8, s88
	v_add_co_u32_e32 v6, vcc, s87, v6
	v_addc_co_u32_e32 v7, vcc, v8, v7, vcc
	v_add_u32_e32 v8, s14, v1
	v_ashrrev_i32_e32 v9, 31, v8
	v_lshlrev_b64 v[8:9], 4, v[8:9]
	v_add_u32_e32 v20, s56, v1
	v_mov_b32_e32 v10, s86
	v_add_co_u32_e32 v8, vcc, s85, v8
	v_ashrrev_i32_e32 v21, 31, v20
	v_addc_co_u32_e32 v9, vcc, v10, v9, vcc
	v_lshlrev_b64 v[20:21], 4, v[20:21]
	v_mov_b32_e32 v10, s88
	v_add_co_u32_e32 v20, vcc, s87, v20
	s_mul_i32 s20, s22, s35
	v_addc_co_u32_e32 v21, vcc, v10, v21, vcc
	s_mov_b64 s[14:15], 0
	v_mov_b32_e32 v10, v1
.LBB7_206:                              ;   Parent Loop BB7_5 Depth=1
                                        ; =>  This Inner Loop Header: Depth=2
	global_load_dwordx4 v[36:39], v[6:7], off offset:-8
	global_load_dwordx4 v[40:43], v[20:21], off offset:-8
	v_mov_b32_e32 v35, s34
	s_waitcnt vmcnt(1)
	v_mul_f64 v[44:45], v[14:15], v[38:39]
	v_mul_f64 v[38:39], v[12:13], v[38:39]
	v_fma_f64 v[44:45], v[12:13], v[36:37], -v[44:45]
	v_fmac_f64_e32 v[38:39], v[14:15], v[36:37]
	s_waitcnt vmcnt(0)
	v_add_f64 v[36:37], v[44:45], -v[40:41]
	v_add_f64 v[40:41], v[38:39], -v[42:43]
	v_mul_f64 v[42:43], v[4:5], v[40:41]
	v_mul_f64 v[38:39], v[4:5], v[36:37]
	v_fma_f64 v[36:37], v[2:3], v[36:37], -v[42:43]
	v_fmac_f64_e32 v[38:39], v[2:3], v[40:41]
	global_store_dwordx4 v[8:9], v[36:39], off offset:-8
	global_load_dwordx4 v[36:39], v[20:21], off offset:-8
	s_nop 0
	global_load_dwordx4 v[40:43], v[6:7], off offset:-8
	v_add_u32_e32 v44, s20, v10
	v_add_u32_e32 v10, 0x100, v10
	v_ashrrev_i32_e32 v45, 31, v44
	v_cmp_lt_i32_e32 vcc, s19, v10
	v_lshlrev_b64 v[44:45], 4, v[44:45]
	s_or_b64 s[14:15], vcc, s[14:15]
	v_add_co_u32_e32 v44, vcc, s33, v44
	v_addc_co_u32_e32 v45, vcc, v35, v45, vcc
	v_add_co_u32_e32 v6, vcc, s93, v6
	v_addc_co_u32_e32 v7, vcc, 0, v7, vcc
	;; [unrolled: 2-line block ×4, first 2 shown]
	s_waitcnt vmcnt(1)
	v_mul_f64 v[46:47], v[18:19], v[38:39]
	v_mul_f64 v[38:39], v[16:17], v[38:39]
	v_fma_f64 v[46:47], v[16:17], v[36:37], -v[46:47]
	v_fmac_f64_e32 v[38:39], v[18:19], v[36:37]
	s_waitcnt vmcnt(0)
	v_add_f64 v[36:37], v[46:47], -v[40:41]
	v_add_f64 v[40:41], v[38:39], -v[42:43]
	v_mul_f64 v[42:43], v[4:5], v[40:41]
	v_mul_f64 v[38:39], v[4:5], v[36:37]
	v_fma_f64 v[36:37], v[2:3], v[36:37], -v[42:43]
	v_fmac_f64_e32 v[38:39], v[2:3], v[40:41]
	global_store_dwordx4 v[44:45], v[36:39], off
	s_andn2_b64 exec, exec, s[14:15]
	s_cbranch_execnz .LBB7_206
.LBB7_207:                              ;   in Loop: Header=BB7_5 Depth=1
	s_or_b64 exec, exec, s[6:7]
.LBB7_208:                              ;   in Loop: Header=BB7_5 Depth=1
	s_and_saveexec_b64 s[6:7], s[16:17]
	s_cbranch_execz .LBB7_210
; %bb.209:                              ;   in Loop: Header=BB7_5 Depth=1
	s_add_i32 s14, s94, -1
	s_mul_i32 s14, s14, s36
	s_add_i32 s18, s22, -1
	s_ashr_i32 s15, s14, 31
	s_ashr_i32 s20, s22, 31
	s_add_u32 s14, s14, s22
	s_addc_u32 s15, s15, s20
	s_lshl_b64 s[14:15], s[14:15], 4
	s_add_u32 s14, s77, s14
	s_addc_u32 s15, s78, s15
	global_load_dwordx4 v[2:5], v11, s[14:15]
	s_mul_i32 s14, s18, s71
	s_ashr_i32 s15, s14, 31
	s_lshl_b64 s[14:15], s[14:15], 4
	s_add_u32 s14, s33, s14
	s_addc_u32 s15, s34, s15
	s_ashr_i32 s19, s56, 31
	s_add_u32 s18, s56, s22
	s_addc_u32 s19, s19, s20
	s_lshl_b64 s[18:19], s[18:19], 4
	s_add_u32 s18, s77, s18
	s_addc_u32 s19, s78, s19
	s_mul_i32 s21, s22, s35
	s_waitcnt vmcnt(0)
	global_store_dwordx4 v11, v[2:5], s[14:15]
	global_load_dwordx4 v[2:5], v11, s[18:19]
	s_ashr_i32 s15, s21, 31
	s_add_u32 s14, s22, s21
	s_addc_u32 s15, s20, s15
	s_lshl_b64 s[14:15], s[14:15], 4
	s_add_u32 s14, s79, s14
	s_addc_u32 s15, s80, s15
	s_add_i32 s18, s56, s22
	s_ashr_i32 s19, s18, 31
	s_lshl_b64 s[18:19], s[18:19], 4
	s_add_u32 s18, s67, s18
	s_addc_u32 s19, s68, s19
	s_waitcnt vmcnt(0)
	global_store_dwordx4 v11, v[2:5], s[14:15]
	global_load_dwordx4 v[2:5], v11, s[18:19]
	s_add_i32 s14, s21, s22
	s_ashr_i32 s15, s14, 31
	s_lshl_b64 s[14:15], s[14:15], 4
	s_add_u32 s14, s33, s14
	s_addc_u32 s15, s34, s15
	s_waitcnt vmcnt(0)
	global_store_dwordx4 v11, v[2:5], s[14:15]
.LBB7_210:                              ;   in Loop: Header=BB7_5 Depth=1
	s_or_b64 exec, exec, s[6:7]
	s_mov_b64 s[6:7], 0
	s_mov_b32 s18, -2
	s_barrier
	s_branch .LBB7_188
.LBB7_211:                              ;   in Loop: Header=BB7_5 Depth=1
	s_add_i32 s6, s56, s22
	s_ashr_i32 s7, s6, 31
	s_lshl_b64 s[6:7], s[6:7], 4
	s_add_u32 s6, s67, s6
	s_addc_u32 s7, s68, s7
	global_load_dwordx4 v[2:5], v11, s[6:7]
	s_waitcnt vmcnt(0)
	v_xor_b32_e32 v7, 0x80000000, v3
	v_cmp_gt_f64_e32 vcc, 0, v[2:3]
	v_xor_b32_e32 v8, 0x80000000, v5
	v_cndmask_b32_e32 v7, v3, v7, vcc
	v_cmp_gt_f64_e32 vcc, 0, v[4:5]
	v_mov_b32_e32 v6, v2
	v_cndmask_b32_e32 v9, v5, v8, vcc
	v_mov_b32_e32 v8, v4
	v_cmp_ngt_f64_e32 vcc, v[6:7], v[8:9]
	s_cbranch_vccz .LBB7_213
; %bb.212:                              ;   in Loop: Header=BB7_5 Depth=1
	v_div_scale_f64 v[6:7], s[14:15], v[4:5], v[4:5], v[2:3]
	v_rcp_f64_e32 v[8:9], v[6:7]
	v_div_scale_f64 v[12:13], vcc, v[2:3], v[4:5], v[2:3]
	v_fma_f64 v[14:15], -v[6:7], v[8:9], 1.0
	v_fmac_f64_e32 v[8:9], v[8:9], v[14:15]
	v_fma_f64 v[14:15], -v[6:7], v[8:9], 1.0
	v_fmac_f64_e32 v[8:9], v[8:9], v[14:15]
	v_mul_f64 v[14:15], v[12:13], v[8:9]
	v_fma_f64 v[6:7], -v[6:7], v[14:15], v[12:13]
	v_div_fmas_f64 v[6:7], v[6:7], v[8:9], v[14:15]
	v_div_fixup_f64 v[8:9], v[6:7], v[4:5], v[2:3]
	v_fma_f64 v[6:7], v[2:3], v[8:9], v[4:5]
	v_div_scale_f64 v[12:13], s[14:15], v[6:7], v[6:7], 1.0
	v_rcp_f64_e32 v[14:15], v[12:13]
	v_fma_f64 v[16:17], -v[12:13], v[14:15], 1.0
	v_fmac_f64_e32 v[14:15], v[14:15], v[16:17]
	v_fma_f64 v[16:17], -v[12:13], v[14:15], 1.0
	v_fmac_f64_e32 v[14:15], v[14:15], v[16:17]
	v_div_scale_f64 v[16:17], vcc, 1.0, v[6:7], 1.0
	v_mul_f64 v[18:19], v[16:17], v[14:15]
	v_fma_f64 v[12:13], -v[12:13], v[18:19], v[16:17]
	s_nop 1
	v_div_fmas_f64 v[12:13], v[12:13], v[14:15], v[18:19]
	v_div_fixup_f64 v[12:13], v[12:13], v[6:7], 1.0
	v_add_f64 v[6:7], v[8:9], 0
	v_fma_f64 v[8:9], v[8:9], 0, -1.0
	v_mul_f64 v[6:7], v[6:7], v[12:13]
	v_mul_f64 v[8:9], v[8:9], v[12:13]
	s_cbranch_execz .LBB7_214
	s_branch .LBB7_215
.LBB7_213:                              ;   in Loop: Header=BB7_5 Depth=1
                                        ; implicit-def: $vgpr6_vgpr7
                                        ; implicit-def: $vgpr8_vgpr9
.LBB7_214:                              ;   in Loop: Header=BB7_5 Depth=1
	v_div_scale_f64 v[6:7], s[14:15], v[2:3], v[2:3], v[4:5]
	v_rcp_f64_e32 v[8:9], v[6:7]
	v_div_scale_f64 v[12:13], vcc, v[4:5], v[2:3], v[4:5]
	v_fma_f64 v[14:15], -v[6:7], v[8:9], 1.0
	v_fmac_f64_e32 v[8:9], v[8:9], v[14:15]
	v_fma_f64 v[14:15], -v[6:7], v[8:9], 1.0
	v_fmac_f64_e32 v[8:9], v[8:9], v[14:15]
	v_mul_f64 v[14:15], v[12:13], v[8:9]
	v_fma_f64 v[6:7], -v[6:7], v[14:15], v[12:13]
	v_div_fmas_f64 v[6:7], v[6:7], v[8:9], v[14:15]
	v_div_fixup_f64 v[8:9], v[6:7], v[2:3], v[4:5]
	v_fmac_f64_e32 v[2:3], v[4:5], v[8:9]
	v_div_scale_f64 v[4:5], s[14:15], v[2:3], v[2:3], 1.0
	v_rcp_f64_e32 v[6:7], v[4:5]
	v_fma_f64 v[12:13], -v[4:5], v[6:7], 1.0
	v_fmac_f64_e32 v[6:7], v[6:7], v[12:13]
	v_fma_f64 v[12:13], -v[4:5], v[6:7], 1.0
	v_fmac_f64_e32 v[6:7], v[6:7], v[12:13]
	v_div_scale_f64 v[12:13], vcc, 1.0, v[2:3], 1.0
	v_mul_f64 v[14:15], v[12:13], v[6:7]
	v_fma_f64 v[4:5], -v[4:5], v[14:15], v[12:13]
	s_nop 1
	v_div_fmas_f64 v[4:5], v[4:5], v[6:7], v[14:15]
	v_div_fixup_f64 v[2:3], v[4:5], v[2:3], 1.0
	v_fma_f64 v[4:5], v[8:9], 0, 1.0
	v_mul_f64 v[6:7], v[4:5], v[2:3]
	v_add_f64 v[4:5], -v[8:9], 0
	v_mul_f64 v[8:9], v[4:5], v[2:3]
.LBB7_215:                              ;   in Loop: Header=BB7_5 Depth=1
	s_and_saveexec_b64 s[14:15], s[16:17]
	s_cbranch_execnz .LBB7_217
; %bb.216:                              ;   in Loop: Header=BB7_5 Depth=1
	s_or_b64 exec, exec, s[14:15]
	s_and_saveexec_b64 s[6:7], s[12:13]
	s_cbranch_execnz .LBB7_218
	s_branch .LBB7_220
.LBB7_217:                              ;   in Loop: Header=BB7_5 Depth=1
	global_load_dwordx4 v[2:5], v11, s[6:7]
	s_mul_i32 s6, s22, s71
	s_ashr_i32 s7, s6, 31
	s_lshl_b64 s[6:7], s[6:7], 4
	s_add_u32 s6, s33, s6
	s_addc_u32 s7, s34, s7
	s_waitcnt vmcnt(0)
	global_store_dwordx4 v11, v[2:5], s[6:7]
	s_or_b64 exec, exec, s[14:15]
	s_and_saveexec_b64 s[6:7], s[12:13]
	s_cbranch_execz .LBB7_220
.LBB7_218:                              ;   in Loop: Header=BB7_5 Depth=1
	v_add_u32_e32 v2, s56, v1
	v_ashrrev_i32_e32 v3, 31, v2
	v_lshlrev_b64 v[2:3], 4, v[2:3]
	s_mul_i32 s12, s22, s35
	v_mov_b32_e32 v4, s88
	v_add_co_u32_e32 v2, vcc, s87, v2
	v_addc_co_u32_e32 v3, vcc, v4, v3, vcc
	v_add_u32_e32 v4, s12, v1
	v_ashrrev_i32_e32 v5, 31, v4
	v_lshlrev_b64 v[4:5], 4, v[4:5]
	v_mov_b32_e32 v10, s86
	v_add_co_u32_e32 v4, vcc, s85, v4
	v_addc_co_u32_e32 v5, vcc, v10, v5, vcc
	s_mov_b64 s[12:13], 0
	v_mov_b32_e32 v10, v1
.LBB7_219:                              ;   Parent Loop BB7_5 Depth=1
                                        ; =>  This Inner Loop Header: Depth=2
	global_load_dwordx4 v[12:15], v[2:3], off offset:-8
	v_add_co_u32_e32 v2, vcc, 0x1000, v2
	v_add_u32_e32 v10, 0x100, v10
	v_addc_co_u32_e32 v3, vcc, 0, v3, vcc
	v_cmp_le_i32_e32 vcc, s22, v10
	s_or_b64 s[12:13], vcc, s[12:13]
	s_waitcnt vmcnt(0)
	v_mul_f64 v[18:19], v[8:9], v[14:15]
	v_mul_f64 v[16:17], v[6:7], v[14:15]
	v_fma_f64 v[14:15], v[6:7], v[12:13], -v[18:19]
	v_fmac_f64_e32 v[16:17], v[8:9], v[12:13]
	global_store_dwordx4 v[4:5], v[14:17], off offset:-8
	v_add_co_u32_e32 v4, vcc, 0x1000, v4
	v_addc_co_u32_e32 v5, vcc, 0, v5, vcc
	s_andn2_b64 exec, exec, s[12:13]
	s_cbranch_execnz .LBB7_219
.LBB7_220:                              ;   in Loop: Header=BB7_5 Depth=1
	s_or_b64 exec, exec, s[6:7]
	s_mov_b64 s[6:7], -1
	s_mov_b32 s18, -1
	s_barrier
	s_branch .LBB7_189
.LBB7_221:                              ;   in Loop: Header=BB7_5 Depth=1
	ds_read_b32 v2, v11 offset:3100
	s_waitcnt lgkmcnt(0)
	v_readfirstlane_b32 s6, v2
	s_cmp_eq_u32 s6, 0
	s_cselect_b64 s[6:7], -1, 0
	s_and_b64 s[12:13], s[16:17], s[6:7]
	s_and_saveexec_b64 s[6:7], s[12:13]
	s_cbranch_execz .LBB7_223
; %bb.222:                              ;   in Loop: Header=BB7_5 Depth=1
	s_add_i32 s12, s22, 1
	v_mov_b32_e32 v2, s12
	ds_write_b32 v11, v2 offset:3100
.LBB7_223:                              ;   in Loop: Header=BB7_5 Depth=1
	s_or_b64 exec, exec, s[6:7]
	s_mov_b32 s18, -1
	s_mov_b64 s[6:7], -1
	s_mov_b32 s57, s22
	s_and_saveexec_b64 s[12:13], s[16:17]
	s_cbranch_execz .LBB7_4
.LBB7_224:                              ;   in Loop: Header=BB7_5 Depth=1
	s_mov_b32 s23, s91
	s_xor_b64 s[20:21], s[6:7], -1
	s_lshl_b64 s[6:7], s[22:23], 2
	s_add_u32 s6, s64, s6
	s_addc_u32 s7, s65, s7
	s_mov_b64 s[14:15], -1
	s_and_b64 vcc, exec, s[20:21]
	s_cbranch_vccz .LBB7_226
; %bb.225:                              ;   in Loop: Header=BB7_5 Depth=1
	s_not_b32 s14, s57
	v_mov_b32_e32 v2, s14
	v_mov_b32_e32 v3, s14
	global_store_dwordx2 v11, v[2:3], s[6:7] offset:-4
	s_mov_b64 s[14:15], 0
.LBB7_226:                              ;   in Loop: Header=BB7_5 Depth=1
	s_andn2_b64 vcc, exec, s[14:15]
	s_cbranch_vccnz .LBB7_4
; %bb.227:                              ;   in Loop: Header=BB7_5 Depth=1
	s_add_i32 s14, s57, 1
	v_mov_b32_e32 v2, s14
	global_store_dword v11, v2, s[6:7]
	s_branch .LBB7_4
.LBB7_228:
	s_add_i32 s12, s94, 1
.LBB7_229:
	s_and_saveexec_b64 s[6:7], s[16:17]
	s_cbranch_execz .LBB7_231
; %bb.230:
	s_lshl_b64 s[8:9], s[46:47], 2
	s_add_u32 s10, s28, s8
	s_addc_u32 s11, s29, s9
	v_mov_b32_e32 v2, 0
	s_add_u32 s8, s26, s8
	ds_read_b32 v3, v2 offset:3100
	s_addc_u32 s9, s27, s9
	s_not_b32 s13, s22
	s_add_i32 s13, s13, s36
	v_mov_b32_e32 v4, s13
	global_store_dword v2, v4, s[10:11]
	s_waitcnt lgkmcnt(0)
	global_store_dword v2, v3, s[8:9]
.LBB7_231:
	s_or_b64 exec, exec, s[6:7]
	s_abs_i32 s6, s37
	v_cvt_f32_u32_e32 v2, s6
	s_sub_i32 s9, 0, s6
	s_abs_i32 s8, s22
	s_ashr_i32 s7, s22, 31
	v_rcp_iflag_f32_e32 v2, v2
	s_mov_b32 s11, 0
	v_mul_f32_e32 v2, 0x4f7ffffe, v2
	v_cvt_u32_f32_e32 v2, v2
	v_readfirstlane_b32 s10, v2
	s_mul_i32 s9, s9, s10
	s_mul_hi_u32 s9, s10, s9
	s_add_i32 s10, s10, s9
	s_mul_hi_u32 s9, s8, s10
	s_mul_i32 s9, s9, s6
	s_sub_i32 s8, s8, s9
	s_sub_i32 s9, s8, s6
	s_cmp_ge_u32 s8, s6
	s_cselect_b32 s8, s9, s8
	s_sub_i32 s9, s8, s6
	s_cmp_ge_u32 s8, s6
	s_cselect_b32 s6, s9, s8
	s_xor_b32 s6, s6, s7
	s_sub_i32 s6, s7, s6
	s_add_i32 s10, s22, s6
	s_add_i32 s8, s22, 1
	s_cmp_lt_i32 s10, 0
	s_cbranch_scc1 .LBB7_249
; %bb.232:
	s_mul_i32 s12, s12, s36
	s_not_b32 s9, s22
	s_mul_i32 s6, s8, s35
	s_ashr_i32 s13, s12, 31
	s_add_i32 s9, s9, s36
	s_ashr_i32 s7, s6, 31
	s_lshl_b64 s[16:17], s[12:13], 4
	s_add_u32 s26, s67, s16
	s_addc_u32 s27, s68, s17
	s_cmp_gt_i32 s9, 0
	s_cselect_b64 s[12:13], -1, 0
	s_lshl_b64 s[6:7], s[6:7], 4
	s_add_u32 s28, s33, s6
	s_addc_u32 s29, s34, s7
	s_add_u32 s14, s42, s44
	s_addc_u32 s15, s43, s45
	;; [unrolled: 2-line block ×4, first 2 shown]
	v_mov_b32_e32 v2, s7
	v_add_co_u32_e32 v4, vcc, s6, v23
	s_ashr_i32 s7, s35, 31
	s_mov_b32 s6, s35
	s_lshl_b64 s[14:15], s[6:7], 4
	s_add_u32 s6, s40, s16
	s_addc_u32 s7, s41, s17
	s_add_u32 s6, s6, s38
	s_addc_u32 s7, s7, s39
	v_addc_co_u32_e32 v2, vcc, 0, v2, vcc
	s_add_u32 s30, s6, 8
	v_add_co_u32_e32 v14, vcc, 8, v4
	s_addc_u32 s31, s7, 0
	s_ashr_i32 s7, s36, 31
	s_mov_b32 s6, s36
	s_mov_b32 s18, 0
	v_mov_b32_e32 v3, 0
	v_addc_co_u32_e32 v15, vcc, 0, v2, vcc
	s_lshl_b64 s[16:17], s[6:7], 4
	v_mov_b32_e32 v16, s15
	s_brev_b32 s19, 1
	s_branch .LBB7_234
.LBB7_233:                              ;   in Loop: Header=BB7_234 Depth=1
	s_or_b64 exec, exec, s[6:7]
	s_sub_i32 s10, s10, s37
	s_cmp_gt_i32 s10, -1
	s_cbranch_scc0 .LBB7_249
.LBB7_234:                              ; =>This Loop Header: Depth=1
                                        ;     Child Loop BB7_237 Depth 2
                                        ;       Child Loop BB7_240 Depth 3
                                        ;         Child Loop BB7_242 Depth 4
                                        ;     Child Loop BB7_246 Depth 2
                                        ;       Child Loop BB7_248 Depth 3
	s_sub_i32 s6, s8, s10
	s_min_i32 s15, s6, s37
	s_cmp_lt_i32 s15, 1
	s_cbranch_scc1 .LBB7_243
; %bb.235:                              ;   in Loop: Header=BB7_234 Depth=1
	s_lshl_b64 s[6:7], s[10:11], 4
	s_add_u32 s20, s30, s6
	s_addc_u32 s21, s31, s7
	s_add_i32 s38, s15, s10
	v_mov_b32_e32 v2, s7
	v_add_co_u32_e32 v4, vcc, s6, v14
	s_add_u32 s39, s33, s6
	v_addc_co_u32_e32 v5, vcc, v15, v2, vcc
	s_addc_u32 s40, s34, s7
	s_mov_b32 s41, s10
	s_branch .LBB7_237
.LBB7_236:                              ;   in Loop: Header=BB7_237 Depth=2
	s_or_b64 exec, exec, s[22:23]
	s_add_i32 s41, s41, 1
	s_add_u32 s20, s20, 16
	s_addc_u32 s21, s21, 0
	s_cmp_lt_i32 s41, s38
	s_cbranch_scc0 .LBB7_243
.LBB7_237:                              ;   Parent Loop BB7_234 Depth=1
                                        ; =>  This Loop Header: Depth=2
                                        ;       Child Loop BB7_240 Depth 3
                                        ;         Child Loop BB7_242 Depth 4
	s_sub_i32 s42, s41, s10
	v_cmp_ge_i32_e32 vcc, s42, v1
	s_and_saveexec_b64 s[22:23], vcc
	s_cbranch_execz .LBB7_236
; %bb.238:                              ;   in Loop: Header=BB7_237 Depth=2
	s_mul_i32 s6, s41, s35
	s_ashr_i32 s7, s6, 31
	s_lshl_b64 s[6:7], s[6:7], 4
	s_add_u32 s43, s39, s6
	s_addc_u32 s6, s40, s7
	s_mov_b64 s[24:25], 0
	v_mov_b32_e32 v17, s6
	v_pk_mov_b32 v[6:7], v[4:5], v[4:5] op_sel:[0,1]
	v_mov_b32_e32 v2, v1
	s_branch .LBB7_240
.LBB7_239:                              ;   in Loop: Header=BB7_240 Depth=3
	v_lshlrev_b64 v[12:13], 4, v[2:3]
	v_add_co_u32_e32 v12, vcc, s43, v12
	v_addc_co_u32_e32 v13, vcc, v17, v13, vcc
	global_load_dwordx4 v[18:21], v[12:13], off
	v_fma_f64 v[24:25], v[8:9], s[18:19], -v[10:11]
	v_fma_f64 v[10:11], v[10:11], 0, -v[8:9]
	v_add_u32_e32 v2, 0x100, v2
	v_add_co_u32_e32 v6, vcc, 0x1000, v6
	v_cmp_lt_i32_e64 s[6:7], s42, v2
	s_or_b64 s[24:25], s[6:7], s[24:25]
	v_addc_co_u32_e32 v7, vcc, 0, v7, vcc
	s_waitcnt vmcnt(0)
	v_pk_mov_b32 v[8:9], v[18:19], v[18:19] op_sel:[0,1]
	v_fmac_f64_e32 v[8:9], 0x80000000, v[20:21]
	v_fmac_f64_e32 v[20:21], 0, v[18:19]
	v_add_f64 v[8:9], v[24:25], v[8:9]
	v_add_f64 v[10:11], v[10:11], v[20:21]
	global_store_dwordx4 v[12:13], v[8:11], off
	s_andn2_b64 exec, exec, s[24:25]
	s_cbranch_execz .LBB7_236
.LBB7_240:                              ;   Parent Loop BB7_234 Depth=1
                                        ;     Parent Loop BB7_237 Depth=2
                                        ; =>    This Loop Header: Depth=3
                                        ;         Child Loop BB7_242 Depth 4
	v_pk_mov_b32 v[8:9], 0, 0
	s_andn2_b64 vcc, exec, s[12:13]
	v_pk_mov_b32 v[10:11], v[8:9], v[8:9] op_sel:[0,1]
	s_cbranch_vccnz .LBB7_239
; %bb.241:                              ;   in Loop: Header=BB7_240 Depth=3
	v_pk_mov_b32 v[8:9], 0, 0
	s_mov_b64 s[6:7], s[20:21]
	v_pk_mov_b32 v[12:13], v[6:7], v[6:7] op_sel:[0,1]
	s_mov_b32 s44, s9
	v_pk_mov_b32 v[10:11], v[8:9], v[8:9] op_sel:[0,1]
.LBB7_242:                              ;   Parent Loop BB7_234 Depth=1
                                        ;     Parent Loop BB7_237 Depth=2
                                        ;       Parent Loop BB7_240 Depth=3
                                        ; =>      This Inner Loop Header: Depth=4
	global_load_dwordx4 v[18:21], v3, s[6:7] offset:-8
	global_load_dwordx4 v[24:27], v[12:13], off offset:-8
	s_add_i32 s44, s44, -1
	s_add_u32 s6, s6, s16
	v_add_co_u32_e32 v12, vcc, s14, v12
	s_addc_u32 s7, s7, s17
	v_addc_co_u32_e32 v13, vcc, v13, v16, vcc
	s_cmp_eq_u32 s44, 0
	s_waitcnt vmcnt(0)
	v_mul_f64 v[28:29], v[20:21], v[26:27]
	v_mul_f64 v[26:27], v[18:19], v[26:27]
	v_fma_f64 v[18:19], v[18:19], v[24:25], -v[28:29]
	v_fmac_f64_e32 v[26:27], v[20:21], v[24:25]
	v_add_f64 v[10:11], v[10:11], v[18:19]
	v_add_f64 v[8:9], v[8:9], v[26:27]
	s_cbranch_scc0 .LBB7_242
	s_branch .LBB7_239
.LBB7_243:                              ;   in Loop: Header=BB7_234 Depth=1
	s_mul_i32 s15, s15, s10
	v_cmp_gt_i32_e32 vcc, s15, v1
	s_and_saveexec_b64 s[6:7], vcc
	s_cbranch_execz .LBB7_233
; %bb.244:                              ;   in Loop: Header=BB7_234 Depth=1
	s_lshl_b64 s[20:21], s[10:11], 4
	s_add_u32 s22, s26, s20
	s_mul_i32 s20, s10, s35
	s_addc_u32 s23, s27, s21
	s_ashr_i32 s21, s20, 31
	s_lshl_b64 s[20:21], s[20:21], 4
	s_add_u32 s24, s33, s20
	s_addc_u32 s25, s34, s21
	s_abs_i32 s38, s10
	v_cvt_f32_u32_e32 v2, s38
	s_sub_i32 s40, 0, s38
	s_mov_b64 s[20:21], 0
	s_ashr_i32 s39, s10, 31
	v_rcp_iflag_f32_e32 v2, v2
	v_mov_b32_e32 v13, v1
	v_mul_f32_e32 v2, 0x4f7ffffe, v2
	v_cvt_u32_f32_e32 v2, v2
	v_mul_lo_u32 v4, s40, v2
	v_mul_hi_u32 v4, v2, v4
	v_add_u32_e32 v12, v2, v4
	s_branch .LBB7_246
.LBB7_245:                              ;   in Loop: Header=BB7_246 Depth=2
	v_mad_u64_u32 v[8:9], s[40:41], v17, s35, v[2:3]
	v_ashrrev_i32_e32 v9, 31, v8
	v_lshlrev_b64 v[8:9], 4, v[8:9]
	v_mov_b32_e32 v2, s25
	v_add_co_u32_e32 v18, vcc, s24, v8
	v_addc_co_u32_e32 v19, vcc, v2, v9, vcc
	global_load_dwordx4 v[8:11], v[18:19], off
	v_fma_f64 v[20:21], v[4:5], s[18:19], -v[6:7]
	v_fma_f64 v[6:7], v[6:7], 0, -v[4:5]
	v_add_u32_e32 v13, 0x100, v13
	v_cmp_le_i32_e32 vcc, s15, v13
	s_or_b64 s[20:21], vcc, s[20:21]
	s_waitcnt vmcnt(0)
	v_pk_mov_b32 v[4:5], v[8:9], v[8:9] op_sel:[0,1]
	v_fmac_f64_e32 v[4:5], 0x80000000, v[10:11]
	v_fmac_f64_e32 v[10:11], 0, v[8:9]
	v_add_f64 v[4:5], v[20:21], v[4:5]
	v_add_f64 v[6:7], v[6:7], v[10:11]
	global_store_dwordx4 v[18:19], v[4:7], off
	s_andn2_b64 exec, exec, s[20:21]
	s_cbranch_execz .LBB7_233
.LBB7_246:                              ;   Parent Loop BB7_234 Depth=1
                                        ; =>  This Loop Header: Depth=2
                                        ;       Child Loop BB7_248 Depth 3
	v_mul_hi_u32 v2, v13, v12
	v_mul_lo_u32 v4, v2, s38
	v_sub_u32_e32 v4, v13, v4
	v_add_u32_e32 v5, 1, v2
	v_cmp_le_u32_e32 vcc, s38, v4
	v_cndmask_b32_e32 v2, v2, v5, vcc
	v_subrev_u32_e32 v5, s38, v4
	v_cndmask_b32_e32 v4, v4, v5, vcc
	v_add_u32_e32 v5, 1, v2
	v_cmp_le_u32_e32 vcc, s38, v4
	v_cndmask_b32_e32 v2, v2, v5, vcc
	v_xor_b32_e32 v2, s39, v2
	v_subrev_u32_e32 v17, s39, v2
	v_mul_lo_u32 v2, v17, s10
	v_pk_mov_b32 v[4:5], 0, 0
	v_sub_u32_e32 v2, v13, v2
	s_andn2_b64 vcc, exec, s[12:13]
	v_pk_mov_b32 v[6:7], v[4:5], v[4:5] op_sel:[0,1]
	s_cbranch_vccnz .LBB7_245
; %bb.247:                              ;   in Loop: Header=BB7_246 Depth=2
	v_pk_mov_b32 v[4:5], 0, 0
	v_mov_b32_e32 v8, v2
	v_mov_b32_e32 v10, v17
	s_mov_b32 s40, s9
	v_pk_mov_b32 v[6:7], v[4:5], v[4:5] op_sel:[0,1]
.LBB7_248:                              ;   Parent Loop BB7_234 Depth=1
                                        ;     Parent Loop BB7_246 Depth=2
                                        ; =>    This Inner Loop Header: Depth=3
	v_ashrrev_i32_e32 v9, 31, v8
	v_lshlrev_b64 v[18:19], 4, v[8:9]
	v_mov_b32_e32 v9, s29
	v_add_co_u32_e32 v28, vcc, s28, v18
	v_ashrrev_i32_e32 v11, 31, v10
	v_addc_co_u32_e32 v29, vcc, v9, v19, vcc
	v_lshlrev_b64 v[18:19], 4, v[10:11]
	v_mov_b32_e32 v9, s23
	v_add_co_u32_e32 v30, vcc, s22, v18
	v_addc_co_u32_e32 v31, vcc, v9, v19, vcc
	global_load_dwordx4 v[18:21], v[30:31], off
	global_load_dwordx4 v[24:27], v[28:29], off
	s_add_i32 s40, s40, -1
	v_add_u32_e32 v10, s36, v10
	s_cmp_eq_u32 s40, 0
	v_add_u32_e32 v8, s35, v8
	s_waitcnt vmcnt(0)
	v_mul_f64 v[28:29], v[20:21], v[26:27]
	v_mul_f64 v[26:27], v[18:19], v[26:27]
	v_fma_f64 v[18:19], v[18:19], v[24:25], -v[28:29]
	v_fmac_f64_e32 v[26:27], v[20:21], v[24:25]
	v_add_f64 v[6:7], v[6:7], v[18:19]
	v_add_f64 v[4:5], v[4:5], v[26:27]
	s_cbranch_scc0 .LBB7_248
	s_branch .LBB7_245
.LBB7_249:
	s_cmp_ge_i32 s8, s66
	s_waitcnt lgkmcnt(0)
	s_barrier
	s_cbranch_scc1 .LBB7_257
; %bb.250:
	s_load_dwordx2 s[4:5], s[4:5], 0x4
	v_bfe_u32 v2, v0, 10, 10
	v_bfe_u32 v0, v0, 20, 10
	v_mov_b32_e32 v3, 0xc20
	s_lshl_b32 s10, s35, 8
	s_waitcnt lgkmcnt(0)
	s_lshr_b32 s4, s4, 16
	s_mul_i32 s4, s4, s5
	v_mul_u32_u24_e32 v2, s5, v2
	v_mul_lo_u32 v4, s4, v1
	v_add3_u32 v0, v4, v2, v0
	v_lshl_add_u32 v0, v0, 4, v3
	v_mov_b32_e32 v2, 0
	s_branch .LBB7_253
.LBB7_251:                              ;   in Loop: Header=BB7_253 Depth=1
	s_or_b64 exec, exec, s[4:5]
	s_waitcnt lgkmcnt(0)
	s_barrier
.LBB7_252:                              ;   in Loop: Header=BB7_253 Depth=1
	s_cmp_lt_i32 s9, s66
	s_mov_b32 s8, s9
	s_cbranch_scc0 .LBB7_257
.LBB7_253:                              ; =>This Loop Header: Depth=1
                                        ;     Child Loop BB7_256 Depth 2
	s_ashr_i32 s9, s8, 31
	s_lshl_b64 s[4:5], s[8:9], 2
	s_add_u32 s4, s64, s4
	s_addc_u32 s5, s65, s5
	global_load_dword v3, v2, s[4:5]
	s_waitcnt vmcnt(0)
	v_readfirstlane_b32 s4, v3
	s_not_b32 s5, s4
	s_add_i32 s6, s4, -1
	s_cmp_lt_i32 s4, 0
	s_cselect_b32 s11, s5, s6
	s_lshr_b32 s4, s4, 31
	s_add_i32 s6, s8, s4
	s_add_i32 s9, s6, 1
	s_cmp_eq_u32 s11, s8
	s_cselect_b64 s[4:5], -1, 0
	s_cmp_le_i32 s36, s9
	s_cselect_b64 s[12:13], -1, 0
	s_or_b64 s[4:5], s[4:5], s[12:13]
	s_and_b64 vcc, exec, s[4:5]
	s_cbranch_vccnz .LBB7_252
; %bb.254:                              ;   in Loop: Header=BB7_253 Depth=1
	s_sub_i32 s12, s36, s9
	v_cmp_gt_i32_e32 vcc, s12, v1
	s_and_saveexec_b64 s[4:5], vcc
	s_cbranch_execz .LBB7_251
; %bb.255:                              ;   in Loop: Header=BB7_253 Depth=1
	v_add_u32_e32 v3, s6, v22
	v_mul_lo_u32 v3, s35, v3
	s_mov_b64 s[6:7], 0
	v_mov_b32_e32 v4, v1
.LBB7_256:                              ;   Parent Loop BB7_253 Depth=1
                                        ; =>  This Inner Loop Header: Depth=2
	v_add_u32_e32 v6, s11, v3
	v_ashrrev_i32_e32 v7, 31, v6
	v_add_u32_e32 v8, s8, v3
	v_lshlrev_b64 v[6:7], 4, v[6:7]
	v_mov_b32_e32 v5, s34
	v_ashrrev_i32_e32 v9, 31, v8
	v_add_co_u32_e32 v14, vcc, s33, v6
	v_lshlrev_b64 v[8:9], 4, v[8:9]
	v_addc_co_u32_e32 v15, vcc, v5, v7, vcc
	v_mov_b32_e32 v10, s34
	v_add_co_u32_e32 v16, vcc, s33, v8
	v_addc_co_u32_e32 v17, vcc, v10, v9, vcc
	global_load_dwordx4 v[6:9], v[14:15], off
	global_load_dwordx4 v[10:13], v[16:17], off
	v_add_u32_e32 v4, 0x100, v4
	v_cmp_le_i32_e32 vcc, s12, v4
	v_add_u32_e32 v3, s10, v3
	s_or_b64 s[6:7], vcc, s[6:7]
	s_waitcnt vmcnt(1)
	ds_write2_b64 v0, v[6:7], v[8:9] offset1:1
	s_waitcnt vmcnt(0)
	global_store_dwordx4 v[14:15], v[10:13], off
	global_store_dwordx4 v[16:17], v[6:9], off
	s_andn2_b64 exec, exec, s[6:7]
	s_cbranch_execnz .LBB7_256
	s_branch .LBB7_251
.LBB7_257:
	s_endpgm
	.section	.rodata,"a",@progbits
	.p2align	6, 0x0
	.amdhsa_kernel _ZN9rocsolver6v33100L18lasyf_kernel_upperI19rocblas_complex_numIdEPS3_EEviiPiT0_iilS5_lS5_PT_
		.amdhsa_group_segment_fixed_size 7200
		.amdhsa_private_segment_fixed_size 40
		.amdhsa_kernarg_size 72
		.amdhsa_user_sgpr_count 10
		.amdhsa_user_sgpr_private_segment_buffer 1
		.amdhsa_user_sgpr_dispatch_ptr 1
		.amdhsa_user_sgpr_queue_ptr 0
		.amdhsa_user_sgpr_kernarg_segment_ptr 1
		.amdhsa_user_sgpr_dispatch_id 0
		.amdhsa_user_sgpr_flat_scratch_init 1
		.amdhsa_user_sgpr_kernarg_preload_length 0
		.amdhsa_user_sgpr_kernarg_preload_offset 0
		.amdhsa_user_sgpr_private_segment_size 0
		.amdhsa_uses_dynamic_stack 0
		.amdhsa_system_sgpr_private_segment_wavefront_offset 1
		.amdhsa_system_sgpr_workgroup_id_x 1
		.amdhsa_system_sgpr_workgroup_id_y 1
		.amdhsa_system_sgpr_workgroup_id_z 0
		.amdhsa_system_sgpr_workgroup_info 0
		.amdhsa_system_vgpr_workitem_id 2
		.amdhsa_next_free_vgpr 48
		.amdhsa_next_free_sgpr 96
		.amdhsa_accum_offset 48
		.amdhsa_reserve_vcc 1
		.amdhsa_reserve_flat_scratch 0
		.amdhsa_float_round_mode_32 0
		.amdhsa_float_round_mode_16_64 0
		.amdhsa_float_denorm_mode_32 3
		.amdhsa_float_denorm_mode_16_64 3
		.amdhsa_dx10_clamp 1
		.amdhsa_ieee_mode 1
		.amdhsa_fp16_overflow 0
		.amdhsa_tg_split 0
		.amdhsa_exception_fp_ieee_invalid_op 0
		.amdhsa_exception_fp_denorm_src 0
		.amdhsa_exception_fp_ieee_div_zero 0
		.amdhsa_exception_fp_ieee_overflow 0
		.amdhsa_exception_fp_ieee_underflow 0
		.amdhsa_exception_fp_ieee_inexact 0
		.amdhsa_exception_int_div_zero 0
	.end_amdhsa_kernel
	.section	.text._ZN9rocsolver6v33100L18lasyf_kernel_upperI19rocblas_complex_numIdEPS3_EEviiPiT0_iilS5_lS5_PT_,"axG",@progbits,_ZN9rocsolver6v33100L18lasyf_kernel_upperI19rocblas_complex_numIdEPS3_EEviiPiT0_iilS5_lS5_PT_,comdat
.Lfunc_end7:
	.size	_ZN9rocsolver6v33100L18lasyf_kernel_upperI19rocblas_complex_numIdEPS3_EEviiPiT0_iilS5_lS5_PT_, .Lfunc_end7-_ZN9rocsolver6v33100L18lasyf_kernel_upperI19rocblas_complex_numIdEPS3_EEviiPiT0_iilS5_lS5_PT_
                                        ; -- End function
	.section	.AMDGPU.csdata,"",@progbits
; Kernel info:
; codeLenInByte = 12064
; NumSgprs: 100
; NumVgprs: 48
; NumAgprs: 0
; TotalNumVgprs: 48
; ScratchSize: 40
; MemoryBound: 0
; FloatMode: 240
; IeeeMode: 1
; LDSByteSize: 7200 bytes/workgroup (compile time only)
; SGPRBlocks: 12
; VGPRBlocks: 5
; NumSGPRsForWavesPerEU: 100
; NumVGPRsForWavesPerEU: 48
; AccumOffset: 48
; Occupancy: 8
; WaveLimiterHint : 1
; COMPUTE_PGM_RSRC2:SCRATCH_EN: 1
; COMPUTE_PGM_RSRC2:USER_SGPR: 10
; COMPUTE_PGM_RSRC2:TRAP_HANDLER: 0
; COMPUTE_PGM_RSRC2:TGID_X_EN: 1
; COMPUTE_PGM_RSRC2:TGID_Y_EN: 1
; COMPUTE_PGM_RSRC2:TGID_Z_EN: 0
; COMPUTE_PGM_RSRC2:TIDIG_COMP_CNT: 2
; COMPUTE_PGM_RSRC3_GFX90A:ACCUM_OFFSET: 11
; COMPUTE_PGM_RSRC3_GFX90A:TG_SPLIT: 0
	.section	.text._ZN9rocsolver6v33100L18lasyf_kernel_lowerI19rocblas_complex_numIdEPS3_EEviiPiT0_iilS5_lS5_PT_,"axG",@progbits,_ZN9rocsolver6v33100L18lasyf_kernel_lowerI19rocblas_complex_numIdEPS3_EEviiPiT0_iilS5_lS5_PT_,comdat
	.globl	_ZN9rocsolver6v33100L18lasyf_kernel_lowerI19rocblas_complex_numIdEPS3_EEviiPiT0_iilS5_lS5_PT_ ; -- Begin function _ZN9rocsolver6v33100L18lasyf_kernel_lowerI19rocblas_complex_numIdEPS3_EEviiPiT0_iilS5_lS5_PT_
	.p2align	8
	.type	_ZN9rocsolver6v33100L18lasyf_kernel_lowerI19rocblas_complex_numIdEPS3_EEviiPiT0_iilS5_lS5_PT_,@function
_ZN9rocsolver6v33100L18lasyf_kernel_lowerI19rocblas_complex_numIdEPS3_EEviiPiT0_iilS5_lS5_PT_: ; @_ZN9rocsolver6v33100L18lasyf_kernel_lowerI19rocblas_complex_numIdEPS3_EEviiPiT0_iilS5_lS5_PT_
; %bb.0:
	s_add_u32 s0, s0, s12
	v_and_b32_e32 v10, 0x3ff, v0
	s_addc_u32 s1, s1, 0
	s_mov_b32 s44, s11
	v_cmp_eq_u32_e64 s[18:19], 0, v10
	s_and_saveexec_b64 s[8:9], s[18:19]
	s_cbranch_execz .LBB8_2
; %bb.1:
	v_mov_b32_e32 v1, 0
	ds_write_b32 v1, v1 offset:3100
.LBB8_2:
	s_or_b64 exec, exec, s[8:9]
	s_load_dwordx2 s[34:35], s[6:7], 0x18
	s_load_dwordx2 s[36:37], s[6:7], 0x0
	s_load_dwordx4 s[28:31], s[6:7], 0x8
	s_load_dwordx8 s[20:27], s[6:7], 0x20
	s_load_dwordx2 s[40:41], s[6:7], 0x40
	s_ashr_i32 s45, s44, 31
	s_waitcnt lgkmcnt(0)
	s_ashr_i32 s7, s34, 31
	s_mov_b32 s6, s34
	s_mul_i32 s8, s44, s21
	s_mul_hi_u32 s9, s44, s20
	s_add_i32 s8, s9, s8
	s_mul_i32 s9, s45, s20
	s_add_i32 s9, s8, s9
	s_mul_i32 s8, s44, s20
	s_lshl_b64 s[46:47], s[8:9], 4
	s_add_u32 s8, s30, s46
	s_addc_u32 s9, s31, s47
	s_lshl_b64 s[48:49], s[6:7], 4
	s_mul_i32 s6, s44, s36
	s_add_u32 s33, s8, s48
	s_mul_i32 s6, s6, s37
	s_addc_u32 s34, s9, s49
	s_ashr_i32 s7, s6, 31
	s_lshl_b64 s[42:43], s[6:7], 4
	s_add_u32 s38, s40, s42
	s_mul_i32 s6, s44, s25
	s_mul_hi_u32 s7, s44, s24
	s_addc_u32 s39, s41, s43
	s_add_i32 s6, s7, s6
	s_mul_i32 s7, s45, s24
	s_add_i32 s7, s6, s7
	s_mul_i32 s6, s44, s24
	s_lshl_b64 s[6:7], s[6:7], 2
	s_add_u32 s70, s22, s6
	s_addc_u32 s71, s23, s7
	s_cmp_lt_i32 s36, 1
	v_lshlrev_b32_e32 v15, 4, v10
	v_mul_lo_u32 v11, v10, s35
	s_cbranch_scc1 .LBB8_258
; %bb.3:
	s_add_i32 s72, s37, -1
	s_cmp_eq_u32 s37, s36
	s_cselect_b64 s[22:23], -1, 0
	s_add_i32 s73, s36, -1
	s_add_i32 s74, s35, 1
	s_add_i32 s75, s36, -2
	s_add_i32 s76, s36, 1
	s_add_u32 s77, s33, -16
	s_addc_u32 s78, s34, -1
	s_add_u32 s79, s40, s42
	s_movk_i32 s6, 0x80
	s_addc_u32 s80, s41, s43
	v_cmp_gt_u32_e64 s[8:9], s6, v10
	s_add_u32 s6, s46, s48
	s_addc_u32 s7, s47, s49
	s_add_u32 s81, s30, s6
	s_addc_u32 s82, s31, s7
	s_add_u32 s83, s81, 8
	v_mov_b32_e32 v1, 0x800
	s_addc_u32 s84, s82, 0
	v_lshl_or_b32 v37, v10, 2, v1
	v_mov_b32_e32 v1, s84
	v_add_co_u32_e32 v39, vcc, s83, v15
	v_addc_co_u32_e32 v40, vcc, 0, v1, vcc
	s_ashr_i32 s13, s35, 31
	s_mov_b32 s12, s35
	v_mov_b32_e32 v1, s80
	v_add_co_u32_e32 v2, vcc, s79, v15
	s_lshl_b64 s[24:25], s[12:13], 4
	v_addc_co_u32_e32 v1, vcc, 0, v1, vcc
	s_mov_b32 s7, 0
	s_add_u32 s85, s79, 8
	s_mov_b32 s6, s36
	v_add_co_u32_e32 v41, vcc, 16, v2
	s_addc_u32 s86, s80, 0
	s_lshl_b64 s[50:51], s[6:7], 4
	v_addc_co_u32_e32 v42, vcc, 0, v1, vcc
	s_lshl_b32 s6, s36, 8
	v_add_u32_e32 v38, 2, v10
	v_add_co_u32_e32 v43, vcc, 8, v2
	v_mul_lo_u32 v14, v10, s36
	s_ashr_i32 s7, s6, 31
	v_mov_b32_e32 v17, 0
	s_mov_b32 s56, 0
	s_mov_b32 s58, 0x66afed07
	v_lshlrev_b32_e32 v36, 3, v10
	v_cmp_gt_u32_e64 s[10:11], 64, v10
	s_lshl_b32 s87, s35, 8
	v_addc_co_u32_e32 v44, vcc, 0, v1, vcc
	v_mul_lo_u32 v45, v10, s35
	v_ashrrev_i32_e32 v1, 31, v14
	s_lshl_b64 s[52:53], s[6:7], 4
	v_add_u32_e32 v46, s35, v38
	s_mov_b64 s[54:55], 0
	s_brev_b32 s57, 1
	s_brev_b32 s88, -2
	s_mov_b32 s59, 0x3fe47e0f
	s_movk_i32 s89, 0x1000
	v_mov_b32_e32 v12, v17
                                        ; implicit-def: $sgpr60_sgpr61
	s_branch .LBB8_6
.LBB8_4:                                ;   in Loop: Header=BB8_6 Depth=1
	s_or_b64 exec, exec, s[12:13]
	v_add_u32_e32 v12, v4, v12
	v_cmp_le_i32_e32 vcc, s36, v12
	s_andn2_b64 s[6:7], s[60:61], exec
	s_and_b64 s[12:13], vcc, exec
	s_or_b64 s[60:61], s[6:7], s[12:13]
.LBB8_5:                                ;   in Loop: Header=BB8_6 Depth=1
	s_or_b64 exec, exec, s[62:63]
	s_and_b64 s[6:7], exec, s[60:61]
	s_or_b64 s[54:55], s[6:7], s[54:55]
	s_andn2_b64 exec, exec, s[54:55]
	s_cbranch_execz .LBB8_226
.LBB8_6:                                ; =>This Loop Header: Depth=1
                                        ;     Child Loop BB8_11 Depth 2
                                        ;     Child Loop BB8_16 Depth 2
                                        ;       Child Loop BB8_18 Depth 3
                                        ;     Child Loop BB8_22 Depth 2
                                        ;     Child Loop BB8_64 Depth 2
                                        ;     Child Loop BB8_69 Depth 2
                                        ;     Child Loop BB8_74 Depth 2
                                        ;       Child Loop BB8_76 Depth 3
                                        ;     Child Loop BB8_81 Depth 2
                                        ;     Child Loop BB8_122 Depth 2
	;; [unrolled: 1-line block ×9, first 2 shown]
	v_cmp_gt_i32_e32 vcc, s72, v12
	s_or_b64 s[6:7], s[22:23], vcc
	s_or_b64 s[60:61], s[60:61], exec
	s_and_saveexec_b64 s[62:63], s[6:7]
	s_cbranch_execz .LBB8_5
; %bb.7:                                ;   in Loop: Header=BB8_6 Depth=1
	v_sub_u32_e32 v31, s36, v12
	v_cmp_gt_i32_e64 s[14:15], v31, v10
	v_cmp_le_i32_e32 vcc, v31, v10
	v_mul_lo_u32 v20, v12, s36
	s_and_saveexec_b64 s[6:7], vcc
	s_xor_b64 s[6:7], exec, s[6:7]
; %bb.8:                                ;   in Loop: Header=BB8_6 Depth=1
	v_mul_lo_u32 v20, v12, s36
; %bb.9:                                ;   in Loop: Header=BB8_6 Depth=1
	s_andn2_saveexec_b64 s[6:7], s[6:7]
	s_cbranch_execz .LBB8_13
; %bb.10:                               ;   in Loop: Header=BB8_6 Depth=1
	v_mad_u64_u32 v[2:3], s[12:13], s76, v12, v[10:11]
	v_mov_b32_e32 v3, v17
	v_lshlrev_b64 v[2:3], 4, v[2:3]
	v_mov_b32_e32 v4, s80
	v_add_co_u32_e32 v2, vcc, s79, v2
	v_addc_co_u32_e32 v3, vcc, v4, v3, vcc
	v_mad_u64_u32 v[4:5], s[12:13], s74, v12, v[10:11]
	v_ashrrev_i32_e32 v5, 31, v4
	v_lshlrev_b64 v[4:5], 4, v[4:5]
	v_mov_b32_e32 v6, s82
	v_add_co_u32_e32 v4, vcc, s81, v4
	v_addc_co_u32_e32 v5, vcc, v6, v5, vcc
	s_mov_b64 s[12:13], 0
	v_mov_b32_e32 v6, v10
.LBB8_11:                               ;   Parent Loop BB8_6 Depth=1
                                        ; =>  This Inner Loop Header: Depth=2
	global_load_dwordx4 v[22:25], v[4:5], off
	v_add_u32_e32 v6, 0x100, v6
	v_cmp_ge_i32_e32 vcc, v6, v31
	s_or_b64 s[12:13], vcc, s[12:13]
	s_waitcnt vmcnt(0)
	global_store_dwordx4 v[2:3], v[22:25], off
	v_add_co_u32_e32 v2, vcc, 0x1000, v2
	v_addc_co_u32_e32 v3, vcc, 0, v3, vcc
	v_add_co_u32_e32 v4, vcc, 0x1000, v4
	v_addc_co_u32_e32 v5, vcc, 0, v5, vcc
	s_andn2_b64 exec, exec, s[12:13]
	s_cbranch_execnz .LBB8_11
; %bb.12:                               ;   in Loop: Header=BB8_6 Depth=1
	s_or_b64 exec, exec, s[12:13]
.LBB8_13:                               ;   in Loop: Header=BB8_6 Depth=1
	s_or_b64 exec, exec, s[6:7]
	v_mov_b32_e32 v13, v17
	v_lshlrev_b64 v[22:23], 4, v[12:13]
	v_mov_b32_e32 v2, s39
	v_add_co_u32_e32 v32, vcc, s38, v22
	v_ashrrev_i32_e32 v21, 31, v20
	v_addc_co_u32_e32 v33, vcc, v2, v23, vcc
	v_lshlrev_b64 v[4:5], 4, v[20:21]
	v_add_co_u32_e32 v18, vcc, v32, v4
	v_addc_co_u32_e32 v19, vcc, v33, v5, vcc
	s_barrier
	s_and_saveexec_b64 s[16:17], s[14:15]
	s_cbranch_execz .LBB8_20
; %bb.14:                               ;   in Loop: Header=BB8_6 Depth=1
	v_add_co_u32_e32 v2, vcc, v39, v22
	v_addc_co_u32_e32 v3, vcc, v40, v23, vcc
	v_mov_b32_e32 v7, s86
	v_add_co_u32_e32 v6, vcc, s85, v22
	v_cmp_ne_u32_e64 s[12:13], 0, v12
	v_addc_co_u32_e32 v7, vcc, v7, v23, vcc
	s_mov_b64 s[20:21], 0
	v_mov_b32_e32 v16, v10
	s_branch .LBB8_16
.LBB8_15:                               ;   in Loop: Header=BB8_16 Depth=2
	s_or_b64 exec, exec, s[64:65]
	v_lshlrev_b64 v[26:27], 4, v[16:17]
	v_add_co_u32_e32 v34, vcc, v18, v26
	v_addc_co_u32_e32 v35, vcc, v19, v27, vcc
	global_load_dwordx4 v[26:29], v[34:35], off
	v_fma_f64 v[48:49], v[8:9], s[56:57], -v[24:25]
	v_fma_f64 v[8:9], v[24:25], 0, -v[8:9]
	v_add_u32_e32 v16, 0x100, v16
	v_add_co_u32_e32 v2, vcc, 0x1000, v2
	v_cmp_ge_i32_e64 s[6:7], v16, v31
	s_or_b64 s[20:21], s[6:7], s[20:21]
	v_addc_co_u32_e32 v3, vcc, 0, v3, vcc
	s_waitcnt vmcnt(0)
	v_pk_mov_b32 v[24:25], v[26:27], v[26:27] op_sel:[0,1]
	v_fmac_f64_e32 v[24:25], 0x80000000, v[28:29]
	v_fmac_f64_e32 v[28:29], 0, v[26:27]
	v_add_f64 v[24:25], v[48:49], v[24:25]
	v_add_f64 v[26:27], v[8:9], v[28:29]
	global_store_dwordx4 v[34:35], v[24:27], off
	s_andn2_b64 exec, exec, s[20:21]
	s_cbranch_execz .LBB8_20
.LBB8_16:                               ;   Parent Loop BB8_6 Depth=1
                                        ; =>  This Loop Header: Depth=2
                                        ;       Child Loop BB8_18 Depth 3
	v_pk_mov_b32 v[8:9], 0, 0
	v_pk_mov_b32 v[24:25], v[8:9], v[8:9] op_sel:[0,1]
	s_and_saveexec_b64 s[64:65], s[12:13]
	s_cbranch_execz .LBB8_15
; %bb.17:                               ;   in Loop: Header=BB8_16 Depth=2
	v_pk_mov_b32 v[8:9], 0, 0
	s_mov_b64 s[66:67], 0
	v_pk_mov_b32 v[26:27], v[6:7], v[6:7] op_sel:[0,1]
	v_pk_mov_b32 v[28:29], v[2:3], v[2:3] op_sel:[0,1]
	v_mov_b32_e32 v21, v12
	v_pk_mov_b32 v[24:25], v[8:9], v[8:9] op_sel:[0,1]
.LBB8_18:                               ;   Parent Loop BB8_6 Depth=1
                                        ;     Parent Loop BB8_16 Depth=2
                                        ; =>    This Inner Loop Header: Depth=3
	global_load_dwordx4 v[48:51], v[26:27], off offset:-8
	global_load_dwordx4 v[52:55], v[28:29], off offset:-8
	v_mov_b32_e32 v34, s51
	v_add_co_u32_e32 v26, vcc, s50, v26
	v_add_u32_e32 v21, -1, v21
	v_addc_co_u32_e32 v27, vcc, v27, v34, vcc
	v_mov_b32_e32 v30, s25
	v_add_co_u32_e64 v28, s[6:7], s24, v28
	v_cmp_eq_u32_e32 vcc, 0, v21
	v_addc_co_u32_e64 v29, s[6:7], v29, v30, s[6:7]
	s_or_b64 s[66:67], vcc, s[66:67]
	s_waitcnt vmcnt(0)
	v_mul_f64 v[34:35], v[50:51], v[54:55]
	v_mul_f64 v[54:55], v[48:49], v[54:55]
	v_fma_f64 v[34:35], v[48:49], v[52:53], -v[34:35]
	v_fmac_f64_e32 v[54:55], v[50:51], v[52:53]
	v_add_f64 v[24:25], v[24:25], v[34:35]
	v_add_f64 v[8:9], v[8:9], v[54:55]
	s_andn2_b64 exec, exec, s[66:67]
	s_cbranch_execnz .LBB8_18
; %bb.19:                               ;   in Loop: Header=BB8_16 Depth=2
	s_or_b64 exec, exec, s[66:67]
	s_branch .LBB8_15
.LBB8_20:                               ;   in Loop: Header=BB8_6 Depth=1
	s_or_b64 exec, exec, s[16:17]
	v_add_u32_e32 v30, -1, v31
	v_cmp_gt_i32_e64 s[12:13], v30, v10
	v_pk_mov_b32 v[2:3], 0, 0
	v_bfrev_b32_e32 v6, -2
	s_barrier
	s_and_saveexec_b64 s[64:65], s[12:13]
	s_cbranch_execz .LBB8_24
; %bb.21:                               ;   in Loop: Header=BB8_6 Depth=1
	v_add_co_u32_e32 v2, vcc, v4, v22
	v_addc_co_u32_e32 v3, vcc, v5, v23, vcc
	v_add_co_u32_e32 v4, vcc, v41, v2
	v_addc_co_u32_e32 v5, vcc, v42, v3, vcc
	s_mov_b64 s[66:67], 0
	v_pk_mov_b32 v[2:3], 0, 0
	v_bfrev_b32_e32 v6, -2
	v_mov_b32_e32 v7, v10
.LBB8_22:                               ;   Parent Loop BB8_6 Depth=1
                                        ; =>  This Inner Loop Header: Depth=2
	global_load_dwordx4 v[24:27], v[4:5], off
	v_add_co_u32_e32 v4, vcc, 0x1000, v4
	v_cmp_eq_u32_e64 s[6:7], s88, v6
	v_add_u32_e32 v16, 1, v7
	v_add_u32_e32 v7, 0x100, v7
	v_addc_co_u32_e32 v5, vcc, 0, v5, vcc
	v_cmp_ge_i32_e32 vcc, v7, v30
	s_waitcnt vmcnt(0)
	v_xor_b32_e32 v8, 0x80000000, v25
	v_xor_b32_e32 v9, 0x80000000, v27
	v_cmp_gt_f64_e64 s[16:17], 0, v[26:27]
	v_cmp_gt_f64_e64 s[20:21], 0, v[24:25]
	v_cndmask_b32_e64 v25, v25, v8, s[20:21]
	v_cndmask_b32_e64 v27, v27, v9, s[16:17]
	v_add_f64 v[8:9], v[24:25], v[26:27]
	v_cmp_lt_f64_e64 s[16:17], v[2:3], v[8:9]
	s_or_b64 s[6:7], s[16:17], s[6:7]
	v_cndmask_b32_e64 v6, v6, v16, s[6:7]
	v_cndmask_b32_e64 v3, v3, v9, s[6:7]
	s_or_b64 s[66:67], vcc, s[66:67]
	v_cndmask_b32_e64 v2, v2, v8, s[6:7]
	s_andn2_b64 exec, exec, s[66:67]
	s_cbranch_execnz .LBB8_22
; %bb.23:                               ;   in Loop: Header=BB8_6 Depth=1
	s_or_b64 exec, exec, s[66:67]
.LBB8_24:                               ;   in Loop: Header=BB8_6 Depth=1
	s_or_b64 exec, exec, s[64:65]
	v_cmp_lt_i32_e32 vcc, 2, v31
	ds_write_b64 v36, v[2:3]
	ds_write_b32 v37, v6
	s_waitcnt lgkmcnt(0)
	s_barrier
	s_and_saveexec_b64 s[20:21], vcc
	s_cbranch_execz .LBB8_58
; %bb.25:                               ;   in Loop: Header=BB8_6 Depth=1
	s_and_saveexec_b64 s[16:17], s[8:9]
	s_cbranch_execz .LBB8_31
; %bb.26:                               ;   in Loop: Header=BB8_6 Depth=1
	ds_read_b64 v[4:5], v36 offset:1024
	ds_read_b32 v7, v37 offset:512
	s_waitcnt lgkmcnt(1)
	v_cmp_lt_f64_e64 s[64:65], v[2:3], v[4:5]
	v_cmp_nlt_f64_e32 vcc, v[2:3], v[4:5]
	s_and_saveexec_b64 s[66:67], vcc
	s_cbranch_execz .LBB8_28
; %bb.27:                               ;   in Loop: Header=BB8_6 Depth=1
	v_cmp_eq_f64_e32 vcc, v[2:3], v[4:5]
	s_waitcnt lgkmcnt(0)
	v_cmp_gt_i32_e64 s[6:7], v6, v7
	s_and_b64 s[6:7], vcc, s[6:7]
	s_andn2_b64 s[64:65], s[64:65], exec
	s_and_b64 s[6:7], s[6:7], exec
	s_or_b64 s[64:65], s[64:65], s[6:7]
.LBB8_28:                               ;   in Loop: Header=BB8_6 Depth=1
	s_or_b64 exec, exec, s[66:67]
	s_and_saveexec_b64 s[6:7], s[64:65]
	s_cbranch_execz .LBB8_30
; %bb.29:                               ;   in Loop: Header=BB8_6 Depth=1
	v_pk_mov_b32 v[2:3], v[4:5], v[4:5] op_sel:[0,1]
	s_waitcnt lgkmcnt(0)
	v_mov_b32_e32 v6, v7
	ds_write_b64 v36, v[4:5]
	ds_write_b32 v37, v7
.LBB8_30:                               ;   in Loop: Header=BB8_6 Depth=1
	s_or_b64 exec, exec, s[6:7]
.LBB8_31:                               ;   in Loop: Header=BB8_6 Depth=1
	s_or_b64 exec, exec, s[16:17]
	s_waitcnt lgkmcnt(0)
	s_barrier
	s_and_b64 exec, exec, s[10:11]
	s_cbranch_execz .LBB8_58
; %bb.32:                               ;   in Loop: Header=BB8_6 Depth=1
	ds_read_b64 v[4:5], v36 offset:512
	ds_read_b32 v7, v37 offset:256
	s_waitcnt lgkmcnt(1)
	v_cmp_lt_f64_e64 s[16:17], v[2:3], v[4:5]
	v_cmp_nlt_f64_e32 vcc, v[2:3], v[4:5]
	s_and_saveexec_b64 s[64:65], vcc
	s_cbranch_execz .LBB8_34
; %bb.33:                               ;   in Loop: Header=BB8_6 Depth=1
	v_cmp_eq_f64_e32 vcc, v[2:3], v[4:5]
	s_waitcnt lgkmcnt(0)
	v_cmp_gt_i32_e64 s[6:7], v6, v7
	s_and_b64 s[6:7], vcc, s[6:7]
	s_andn2_b64 s[16:17], s[16:17], exec
	s_and_b64 s[6:7], s[6:7], exec
	s_or_b64 s[16:17], s[16:17], s[6:7]
.LBB8_34:                               ;   in Loop: Header=BB8_6 Depth=1
	s_or_b64 exec, exec, s[64:65]
	s_and_saveexec_b64 s[6:7], s[16:17]
	s_cbranch_execz .LBB8_36
; %bb.35:                               ;   in Loop: Header=BB8_6 Depth=1
	s_waitcnt lgkmcnt(0)
	v_mov_b32_e32 v6, v7
	v_pk_mov_b32 v[2:3], v[4:5], v[4:5] op_sel:[0,1]
	ds_write_b64 v36, v[4:5]
	ds_write_b32 v37, v7
.LBB8_36:                               ;   in Loop: Header=BB8_6 Depth=1
	s_or_b64 exec, exec, s[6:7]
	ds_read_b64 v[4:5], v36 offset:256
	s_waitcnt lgkmcnt(1)
	ds_read_b32 v7, v37 offset:128
	s_waitcnt lgkmcnt(1)
	v_cmp_lt_f64_e64 s[16:17], v[2:3], v[4:5]
	v_cmp_nlt_f64_e32 vcc, v[2:3], v[4:5]
	s_and_saveexec_b64 s[64:65], vcc
	s_cbranch_execz .LBB8_38
; %bb.37:                               ;   in Loop: Header=BB8_6 Depth=1
	v_cmp_eq_f64_e32 vcc, v[2:3], v[4:5]
	s_waitcnt lgkmcnt(0)
	v_cmp_gt_i32_e64 s[6:7], v6, v7
	s_and_b64 s[6:7], vcc, s[6:7]
	s_andn2_b64 s[16:17], s[16:17], exec
	s_and_b64 s[6:7], s[6:7], exec
	s_or_b64 s[16:17], s[16:17], s[6:7]
.LBB8_38:                               ;   in Loop: Header=BB8_6 Depth=1
	s_or_b64 exec, exec, s[64:65]
	s_and_saveexec_b64 s[6:7], s[16:17]
	s_cbranch_execz .LBB8_40
; %bb.39:                               ;   in Loop: Header=BB8_6 Depth=1
	s_waitcnt lgkmcnt(0)
	v_mov_b32_e32 v6, v7
	v_pk_mov_b32 v[2:3], v[4:5], v[4:5] op_sel:[0,1]
	ds_write_b64 v36, v[4:5]
	ds_write_b32 v37, v7
.LBB8_40:                               ;   in Loop: Header=BB8_6 Depth=1
	s_or_b64 exec, exec, s[6:7]
	ds_read_b64 v[4:5], v36 offset:128
	s_waitcnt lgkmcnt(1)
	;; [unrolled: 28-line block ×6, first 2 shown]
	ds_read_b32 v7, v37 offset:4
	s_waitcnt lgkmcnt(1)
	v_cmp_eq_f64_e64 s[6:7], v[2:3], v[4:5]
	s_waitcnt lgkmcnt(0)
	v_cmp_gt_i32_e64 s[16:17], v6, v7
	v_cmp_lt_f64_e32 vcc, v[2:3], v[4:5]
	s_and_b64 s[6:7], s[6:7], s[16:17]
	s_or_b64 s[6:7], vcc, s[6:7]
	s_and_b64 exec, exec, s[6:7]
	s_cbranch_execz .LBB8_58
; %bb.57:                               ;   in Loop: Header=BB8_6 Depth=1
	ds_write_b64 v36, v[4:5]
	ds_write_b32 v37, v7
.LBB8_58:                               ;   in Loop: Header=BB8_6 Depth=1
	s_or_b64 exec, exec, s[20:21]
	s_and_saveexec_b64 s[6:7], s[18:19]
	s_cbranch_execz .LBB8_60
; %bb.59:                               ;   in Loop: Header=BB8_6 Depth=1
	global_load_dwordx4 v[2:5], v[18:19], off
	ds_read_b32 v8, v17 offset:2048
	ds_read_b64 v[6:7], v17
	s_waitcnt lgkmcnt(1)
	v_add_u32_e32 v8, v8, v12
	ds_write_b32 v17, v8 offset:3096
	s_waitcnt vmcnt(0)
	v_xor_b32_e32 v8, 0x80000000, v3
	v_cmp_gt_f64_e32 vcc, 0, v[2:3]
	v_xor_b32_e32 v9, 0x80000000, v5
	v_cndmask_b32_e32 v3, v3, v8, vcc
	v_cmp_gt_f64_e32 vcc, 0, v[4:5]
	v_cndmask_b32_e32 v5, v5, v9, vcc
	v_add_f64 v[4:5], v[2:3], v[4:5]
	s_waitcnt lgkmcnt(1)
	ds_write_b128 v17, v[4:7] offset:3072
.LBB8_60:                               ;   in Loop: Header=BB8_6 Depth=1
	s_or_b64 exec, exec, s[6:7]
	s_waitcnt lgkmcnt(0)
	s_barrier
	ds_read_b128 v[2:5], v17 offset:3072
	v_add_u32_e32 v47, 1, v12
	s_waitcnt lgkmcnt(0)
	v_cmp_lt_f64_e32 vcc, v[2:3], v[4:5]
	v_cndmask_b32_e32 v7, v3, v5, vcc
	v_cndmask_b32_e32 v6, v2, v4, vcc
	v_cmp_neq_f64_e32 vcc, 0, v[6:7]
	s_cbranch_vccz .LBB8_78
; %bb.61:                               ;   in Loop: Header=BB8_6 Depth=1
	v_mul_f64 v[4:5], v[4:5], s[58:59]
	v_cmp_ge_f64_e32 vcc, v[2:3], v[4:5]
	s_cbranch_vccnz .LBB8_169
; %bb.62:                               ;   in Loop: Header=BB8_6 Depth=1
	ds_read_b32 v6, v17 offset:3096
	s_waitcnt lgkmcnt(0)
	v_sub_u32_e32 v7, v6, v12
	v_cmp_gt_i32_e32 vcc, v7, v10
	s_and_saveexec_b64 s[6:7], vcc
	s_cbranch_execz .LBB8_65
; %bb.63:                               ;   in Loop: Header=BB8_6 Depth=1
	v_add_u32_e32 v4, v10, v12
	v_mad_u64_u32 v[2:3], s[16:17], v47, s36, v[4:5]
	v_ashrrev_i32_e32 v3, 31, v2
	v_lshlrev_b64 v[2:3], 4, v[2:3]
	v_mov_b32_e32 v5, s80
	v_add_co_u32_e32 v2, vcc, s79, v2
	v_mul_lo_u32 v4, s35, v4
	v_addc_co_u32_e32 v3, vcc, v5, v3, vcc
	v_add_u32_e32 v4, v6, v4
	s_mov_b64 s[16:17], 0
	v_mov_b32_e32 v8, v10
.LBB8_64:                               ;   Parent Loop BB8_6 Depth=1
                                        ; =>  This Inner Loop Header: Depth=2
	v_ashrrev_i32_e32 v5, 31, v4
	v_lshlrev_b64 v[24:25], 4, v[4:5]
	v_mov_b32_e32 v9, s34
	v_add_co_u32_e32 v24, vcc, s33, v24
	v_addc_co_u32_e32 v25, vcc, v9, v25, vcc
	global_load_dwordx4 v[24:27], v[24:25], off
	v_add_u32_e32 v8, 0x100, v8
	v_cmp_ge_i32_e32 vcc, v8, v7
	s_or_b64 s[16:17], vcc, s[16:17]
	v_add_u32_e32 v4, s87, v4
	s_waitcnt vmcnt(0)
	global_store_dwordx4 v[2:3], v[24:27], off
	v_add_co_u32_e32 v2, vcc, 0x1000, v2
	v_addc_co_u32_e32 v3, vcc, 0, v3, vcc
	s_andn2_b64 exec, exec, s[16:17]
	s_cbranch_execnz .LBB8_64
.LBB8_65:                               ;   in Loop: Header=BB8_6 Depth=1
	s_or_b64 exec, exec, s[6:7]
	v_sub_u32_e32 v3, s36, v6
	v_cmp_le_i32_e32 vcc, v3, v10
                                        ; implicit-def: $vgpr2
	s_and_saveexec_b64 s[6:7], vcc
	s_xor_b64 s[6:7], exec, s[6:7]
; %bb.66:                               ;   in Loop: Header=BB8_6 Depth=1
	v_mul_lo_u32 v2, v47, s36
                                        ; implicit-def: $vgpr3
                                        ; implicit-def: $vgpr6
; %bb.67:                               ;   in Loop: Header=BB8_6 Depth=1
	s_andn2_saveexec_b64 s[6:7], s[6:7]
	s_cbranch_execz .LBB8_71
; %bb.68:                               ;   in Loop: Header=BB8_6 Depth=1
	v_mul_lo_u32 v2, v47, s36
	v_add3_u32 v4, v10, v6, v2
	v_ashrrev_i32_e32 v5, 31, v4
	v_lshlrev_b64 v[4:5], 4, v[4:5]
	v_mul_lo_u32 v6, s74, v6
	v_mov_b32_e32 v7, s80
	v_add_co_u32_e32 v4, vcc, s79, v4
	v_add_u32_e32 v6, v10, v6
	v_addc_co_u32_e32 v5, vcc, v7, v5, vcc
	v_ashrrev_i32_e32 v7, 31, v6
	v_lshlrev_b64 v[6:7], 4, v[6:7]
	v_mov_b32_e32 v8, s82
	v_add_co_u32_e32 v6, vcc, s81, v6
	v_addc_co_u32_e32 v7, vcc, v8, v7, vcc
	s_mov_b64 s[16:17], 0
	v_mov_b32_e32 v8, v10
.LBB8_69:                               ;   Parent Loop BB8_6 Depth=1
                                        ; =>  This Inner Loop Header: Depth=2
	global_load_dwordx4 v[24:27], v[6:7], off
	v_add_u32_e32 v8, 0x100, v8
	v_cmp_ge_i32_e32 vcc, v8, v3
	s_or_b64 s[16:17], vcc, s[16:17]
	s_waitcnt vmcnt(0)
	global_store_dwordx4 v[4:5], v[24:27], off
	v_add_co_u32_e32 v4, vcc, 0x1000, v4
	v_addc_co_u32_e32 v5, vcc, 0, v5, vcc
	v_add_co_u32_e32 v6, vcc, 0x1000, v6
	v_addc_co_u32_e32 v7, vcc, 0, v7, vcc
	s_andn2_b64 exec, exec, s[16:17]
	s_cbranch_execnz .LBB8_69
; %bb.70:                               ;   in Loop: Header=BB8_6 Depth=1
	s_or_b64 exec, exec, s[16:17]
.LBB8_71:                               ;   in Loop: Header=BB8_6 Depth=1
	s_or_b64 exec, exec, s[6:7]
	v_ashrrev_i32_e32 v3, 31, v2
	s_barrier
	s_and_saveexec_b64 s[20:21], s[14:15]
	s_cbranch_execz .LBB8_79
; %bb.72:                               ;   in Loop: Header=BB8_6 Depth=1
	ds_read_b32 v6, v17 offset:3096
	v_lshlrev_b64 v[4:5], 4, v[2:3]
	v_add_co_u32_e32 v21, vcc, v32, v4
	v_addc_co_u32_e32 v32, vcc, v33, v5, vcc
	s_waitcnt lgkmcnt(0)
	v_ashrrev_i32_e32 v7, 31, v6
	v_add_co_u32_e32 v4, vcc, v39, v22
	v_addc_co_u32_e32 v5, vcc, v40, v23, vcc
	v_lshlrev_b64 v[6:7], 4, v[6:7]
	v_mov_b32_e32 v8, s86
	v_add_co_u32_e32 v6, vcc, s85, v6
	v_cmp_ne_u32_e64 s[16:17], 0, v12
	v_addc_co_u32_e32 v7, vcc, v8, v7, vcc
	s_mov_b64 s[64:65], 0
	v_mov_b32_e32 v16, v10
	s_branch .LBB8_74
.LBB8_73:                               ;   in Loop: Header=BB8_74 Depth=2
	s_or_b64 exec, exec, s[66:67]
	v_lshlrev_b64 v[26:27], 4, v[16:17]
	v_add_co_u32_e32 v34, vcc, v21, v26
	v_addc_co_u32_e32 v35, vcc, v32, v27, vcc
	global_load_dwordx4 v[26:29], v[34:35], off
	v_fma_f64 v[48:49], v[8:9], s[56:57], -v[24:25]
	v_fma_f64 v[8:9], v[24:25], 0, -v[8:9]
	v_add_u32_e32 v16, 0x100, v16
	v_add_co_u32_e32 v4, vcc, 0x1000, v4
	v_cmp_ge_i32_e64 s[6:7], v16, v31
	s_or_b64 s[64:65], s[6:7], s[64:65]
	v_addc_co_u32_e32 v5, vcc, 0, v5, vcc
	s_waitcnt vmcnt(0)
	v_pk_mov_b32 v[24:25], v[26:27], v[26:27] op_sel:[0,1]
	v_fmac_f64_e32 v[24:25], 0x80000000, v[28:29]
	v_fmac_f64_e32 v[28:29], 0, v[26:27]
	v_add_f64 v[24:25], v[48:49], v[24:25]
	v_add_f64 v[26:27], v[8:9], v[28:29]
	global_store_dwordx4 v[34:35], v[24:27], off
	s_andn2_b64 exec, exec, s[64:65]
	s_cbranch_execz .LBB8_79
.LBB8_74:                               ;   Parent Loop BB8_6 Depth=1
                                        ; =>  This Loop Header: Depth=2
                                        ;       Child Loop BB8_76 Depth 3
	v_pk_mov_b32 v[8:9], 0, 0
	v_pk_mov_b32 v[24:25], v[8:9], v[8:9] op_sel:[0,1]
	s_and_saveexec_b64 s[66:67], s[16:17]
	s_cbranch_execz .LBB8_73
; %bb.75:                               ;   in Loop: Header=BB8_74 Depth=2
	v_pk_mov_b32 v[8:9], 0, 0
	s_mov_b64 s[68:69], 0
	v_pk_mov_b32 v[26:27], v[6:7], v[6:7] op_sel:[0,1]
	v_pk_mov_b32 v[28:29], v[4:5], v[4:5] op_sel:[0,1]
	v_mov_b32_e32 v33, v12
	v_pk_mov_b32 v[24:25], v[8:9], v[8:9] op_sel:[0,1]
.LBB8_76:                               ;   Parent Loop BB8_6 Depth=1
                                        ;     Parent Loop BB8_74 Depth=2
                                        ; =>    This Inner Loop Header: Depth=3
	global_load_dwordx4 v[48:51], v[26:27], off offset:-8
	global_load_dwordx4 v[52:55], v[28:29], off offset:-8
	v_mov_b32_e32 v34, s25
	v_mov_b32_e32 v35, s51
	v_add_co_u32_e32 v26, vcc, s50, v26
	v_add_co_u32_e64 v28, s[6:7], s24, v28
	v_add_u32_e32 v33, -1, v33
	v_addc_co_u32_e64 v29, s[6:7], v29, v34, s[6:7]
	v_addc_co_u32_e32 v27, vcc, v27, v35, vcc
	v_cmp_eq_u32_e32 vcc, 0, v33
	s_or_b64 s[68:69], vcc, s[68:69]
	s_waitcnt vmcnt(0)
	v_mul_f64 v[34:35], v[50:51], v[54:55]
	v_mul_f64 v[54:55], v[48:49], v[54:55]
	v_fma_f64 v[34:35], v[48:49], v[52:53], -v[34:35]
	v_fmac_f64_e32 v[54:55], v[50:51], v[52:53]
	v_add_f64 v[24:25], v[24:25], v[34:35]
	v_add_f64 v[8:9], v[8:9], v[54:55]
	s_andn2_b64 exec, exec, s[68:69]
	s_cbranch_execnz .LBB8_76
; %bb.77:                               ;   in Loop: Header=BB8_74 Depth=2
	s_or_b64 exec, exec, s[68:69]
	s_branch .LBB8_73
.LBB8_78:                               ;   in Loop: Header=BB8_6 Depth=1
                                        ; implicit-def: $sgpr6_sgpr7
                                        ; implicit-def: $vgpr16
                                        ; implicit-def: $vgpr4
	s_cbranch_execnz .LBB8_218
	s_branch .LBB8_221
.LBB8_79:                               ;   in Loop: Header=BB8_6 Depth=1
	s_or_b64 exec, exec, s[20:21]
	s_barrier
	ds_read_b32 v6, v17 offset:3096
	v_pk_mov_b32 v[4:5], 0, 0
	v_bfrev_b32_e32 v8, -2
	s_waitcnt lgkmcnt(0)
	v_sub_u32_e32 v9, v6, v12
	v_cmp_gt_i32_e32 vcc, v9, v10
	s_and_saveexec_b64 s[64:65], vcc
	s_cbranch_execz .LBB8_83
; %bb.80:                               ;   in Loop: Header=BB8_6 Depth=1
	v_lshlrev_b64 v[4:5], 4, v[2:3]
	v_add_co_u32_e32 v4, vcc, v4, v22
	v_addc_co_u32_e32 v5, vcc, v5, v23, vcc
	v_add_co_u32_e32 v6, vcc, v43, v4
	v_addc_co_u32_e32 v7, vcc, v44, v5, vcc
	s_mov_b64 s[66:67], 0
	v_pk_mov_b32 v[4:5], 0, 0
	v_bfrev_b32_e32 v8, -2
	v_mov_b32_e32 v16, v10
.LBB8_81:                               ;   Parent Loop BB8_6 Depth=1
                                        ; =>  This Inner Loop Header: Depth=2
	global_load_dwordx4 v[24:27], v[6:7], off offset:-8
	v_add_co_u32_e32 v6, vcc, 0x1000, v6
	v_cmp_eq_u32_e64 s[6:7], s88, v8
	v_add_u32_e32 v21, 1, v16
	v_add_u32_e32 v16, 0x100, v16
	v_addc_co_u32_e32 v7, vcc, 0, v7, vcc
	v_cmp_ge_i32_e32 vcc, v16, v9
	s_waitcnt vmcnt(0)
	v_xor_b32_e32 v28, 0x80000000, v25
	v_xor_b32_e32 v29, 0x80000000, v27
	v_cmp_gt_f64_e64 s[16:17], 0, v[26:27]
	v_cmp_gt_f64_e64 s[20:21], 0, v[24:25]
	v_cndmask_b32_e64 v25, v25, v28, s[20:21]
	v_cndmask_b32_e64 v27, v27, v29, s[16:17]
	v_add_f64 v[24:25], v[24:25], v[26:27]
	v_cmp_lt_f64_e64 s[16:17], v[4:5], v[24:25]
	s_or_b64 s[6:7], s[16:17], s[6:7]
	v_cndmask_b32_e64 v8, v8, v21, s[6:7]
	v_cndmask_b32_e64 v5, v5, v25, s[6:7]
	s_or_b64 s[66:67], vcc, s[66:67]
	v_cndmask_b32_e64 v4, v4, v24, s[6:7]
	s_andn2_b64 exec, exec, s[66:67]
	s_cbranch_execnz .LBB8_81
; %bb.82:                               ;   in Loop: Header=BB8_6 Depth=1
	s_or_b64 exec, exec, s[66:67]
.LBB8_83:                               ;   in Loop: Header=BB8_6 Depth=1
	s_or_b64 exec, exec, s[64:65]
	v_cmp_lt_i32_e32 vcc, 1, v9
	ds_write_b64 v36, v[4:5]
	ds_write_b32 v37, v8
	s_waitcnt lgkmcnt(0)
	s_barrier
	s_and_saveexec_b64 s[20:21], vcc
	s_cbranch_execz .LBB8_117
; %bb.84:                               ;   in Loop: Header=BB8_6 Depth=1
	s_and_saveexec_b64 s[16:17], s[8:9]
	s_cbranch_execz .LBB8_90
; %bb.85:                               ;   in Loop: Header=BB8_6 Depth=1
	ds_read_b64 v[6:7], v36 offset:1024
	ds_read_b32 v9, v37 offset:512
	s_waitcnt lgkmcnt(1)
	v_cmp_lt_f64_e64 s[64:65], v[4:5], v[6:7]
	v_cmp_nlt_f64_e32 vcc, v[4:5], v[6:7]
	s_and_saveexec_b64 s[66:67], vcc
	s_cbranch_execz .LBB8_87
; %bb.86:                               ;   in Loop: Header=BB8_6 Depth=1
	v_cmp_eq_f64_e32 vcc, v[4:5], v[6:7]
	s_waitcnt lgkmcnt(0)
	v_cmp_gt_i32_e64 s[6:7], v8, v9
	s_and_b64 s[6:7], vcc, s[6:7]
	s_andn2_b64 s[64:65], s[64:65], exec
	s_and_b64 s[6:7], s[6:7], exec
	s_or_b64 s[64:65], s[64:65], s[6:7]
.LBB8_87:                               ;   in Loop: Header=BB8_6 Depth=1
	s_or_b64 exec, exec, s[66:67]
	s_and_saveexec_b64 s[6:7], s[64:65]
	s_cbranch_execz .LBB8_89
; %bb.88:                               ;   in Loop: Header=BB8_6 Depth=1
	v_pk_mov_b32 v[4:5], v[6:7], v[6:7] op_sel:[0,1]
	s_waitcnt lgkmcnt(0)
	v_mov_b32_e32 v8, v9
	ds_write_b64 v36, v[6:7]
	ds_write_b32 v37, v9
.LBB8_89:                               ;   in Loop: Header=BB8_6 Depth=1
	s_or_b64 exec, exec, s[6:7]
.LBB8_90:                               ;   in Loop: Header=BB8_6 Depth=1
	s_or_b64 exec, exec, s[16:17]
	s_waitcnt lgkmcnt(0)
	s_barrier
	s_and_b64 exec, exec, s[10:11]
	s_cbranch_execz .LBB8_117
; %bb.91:                               ;   in Loop: Header=BB8_6 Depth=1
	ds_read_b64 v[6:7], v36 offset:512
	ds_read_b32 v9, v37 offset:256
	s_waitcnt lgkmcnt(1)
	v_cmp_lt_f64_e64 s[16:17], v[4:5], v[6:7]
	v_cmp_nlt_f64_e32 vcc, v[4:5], v[6:7]
	s_and_saveexec_b64 s[64:65], vcc
	s_cbranch_execz .LBB8_93
; %bb.92:                               ;   in Loop: Header=BB8_6 Depth=1
	v_cmp_eq_f64_e32 vcc, v[4:5], v[6:7]
	s_waitcnt lgkmcnt(0)
	v_cmp_gt_i32_e64 s[6:7], v8, v9
	s_and_b64 s[6:7], vcc, s[6:7]
	s_andn2_b64 s[16:17], s[16:17], exec
	s_and_b64 s[6:7], s[6:7], exec
	s_or_b64 s[16:17], s[16:17], s[6:7]
.LBB8_93:                               ;   in Loop: Header=BB8_6 Depth=1
	s_or_b64 exec, exec, s[64:65]
	s_and_saveexec_b64 s[6:7], s[16:17]
	s_cbranch_execz .LBB8_95
; %bb.94:                               ;   in Loop: Header=BB8_6 Depth=1
	s_waitcnt lgkmcnt(0)
	v_mov_b32_e32 v8, v9
	v_pk_mov_b32 v[4:5], v[6:7], v[6:7] op_sel:[0,1]
	ds_write_b64 v36, v[6:7]
	ds_write_b32 v37, v9
.LBB8_95:                               ;   in Loop: Header=BB8_6 Depth=1
	s_or_b64 exec, exec, s[6:7]
	ds_read_b64 v[6:7], v36 offset:256
	s_waitcnt lgkmcnt(1)
	ds_read_b32 v9, v37 offset:128
	s_waitcnt lgkmcnt(1)
	v_cmp_lt_f64_e64 s[16:17], v[4:5], v[6:7]
	v_cmp_nlt_f64_e32 vcc, v[4:5], v[6:7]
	s_and_saveexec_b64 s[64:65], vcc
	s_cbranch_execz .LBB8_97
; %bb.96:                               ;   in Loop: Header=BB8_6 Depth=1
	v_cmp_eq_f64_e32 vcc, v[4:5], v[6:7]
	s_waitcnt lgkmcnt(0)
	v_cmp_gt_i32_e64 s[6:7], v8, v9
	s_and_b64 s[6:7], vcc, s[6:7]
	s_andn2_b64 s[16:17], s[16:17], exec
	s_and_b64 s[6:7], s[6:7], exec
	s_or_b64 s[16:17], s[16:17], s[6:7]
.LBB8_97:                               ;   in Loop: Header=BB8_6 Depth=1
	s_or_b64 exec, exec, s[64:65]
	s_and_saveexec_b64 s[6:7], s[16:17]
	s_cbranch_execz .LBB8_99
; %bb.98:                               ;   in Loop: Header=BB8_6 Depth=1
	s_waitcnt lgkmcnt(0)
	v_mov_b32_e32 v8, v9
	v_pk_mov_b32 v[4:5], v[6:7], v[6:7] op_sel:[0,1]
	ds_write_b64 v36, v[6:7]
	ds_write_b32 v37, v9
.LBB8_99:                               ;   in Loop: Header=BB8_6 Depth=1
	s_or_b64 exec, exec, s[6:7]
	ds_read_b64 v[6:7], v36 offset:128
	s_waitcnt lgkmcnt(1)
	ds_read_b32 v9, v37 offset:64
	s_waitcnt lgkmcnt(1)
	v_cmp_lt_f64_e64 s[16:17], v[4:5], v[6:7]
	v_cmp_nlt_f64_e32 vcc, v[4:5], v[6:7]
	s_and_saveexec_b64 s[64:65], vcc
	s_cbranch_execz .LBB8_101
; %bb.100:                              ;   in Loop: Header=BB8_6 Depth=1
	v_cmp_eq_f64_e32 vcc, v[4:5], v[6:7]
	s_waitcnt lgkmcnt(0)
	v_cmp_gt_i32_e64 s[6:7], v8, v9
	s_and_b64 s[6:7], vcc, s[6:7]
	s_andn2_b64 s[16:17], s[16:17], exec
	s_and_b64 s[6:7], s[6:7], exec
	s_or_b64 s[16:17], s[16:17], s[6:7]
.LBB8_101:                              ;   in Loop: Header=BB8_6 Depth=1
	s_or_b64 exec, exec, s[64:65]
	s_and_saveexec_b64 s[6:7], s[16:17]
	s_cbranch_execz .LBB8_103
; %bb.102:                              ;   in Loop: Header=BB8_6 Depth=1
	s_waitcnt lgkmcnt(0)
	v_mov_b32_e32 v8, v9
	v_pk_mov_b32 v[4:5], v[6:7], v[6:7] op_sel:[0,1]
	ds_write_b64 v36, v[6:7]
	ds_write_b32 v37, v9
.LBB8_103:                              ;   in Loop: Header=BB8_6 Depth=1
	s_or_b64 exec, exec, s[6:7]
	ds_read_b64 v[6:7], v36 offset:64
	s_waitcnt lgkmcnt(1)
	ds_read_b32 v9, v37 offset:32
	s_waitcnt lgkmcnt(1)
	v_cmp_lt_f64_e64 s[16:17], v[4:5], v[6:7]
	v_cmp_nlt_f64_e32 vcc, v[4:5], v[6:7]
	s_and_saveexec_b64 s[64:65], vcc
	s_cbranch_execz .LBB8_105
; %bb.104:                              ;   in Loop: Header=BB8_6 Depth=1
	v_cmp_eq_f64_e32 vcc, v[4:5], v[6:7]
	s_waitcnt lgkmcnt(0)
	v_cmp_gt_i32_e64 s[6:7], v8, v9
	s_and_b64 s[6:7], vcc, s[6:7]
	s_andn2_b64 s[16:17], s[16:17], exec
	s_and_b64 s[6:7], s[6:7], exec
	s_or_b64 s[16:17], s[16:17], s[6:7]
.LBB8_105:                              ;   in Loop: Header=BB8_6 Depth=1
	s_or_b64 exec, exec, s[64:65]
	s_and_saveexec_b64 s[6:7], s[16:17]
	s_cbranch_execz .LBB8_107
; %bb.106:                              ;   in Loop: Header=BB8_6 Depth=1
	s_waitcnt lgkmcnt(0)
	v_mov_b32_e32 v8, v9
	v_pk_mov_b32 v[4:5], v[6:7], v[6:7] op_sel:[0,1]
	ds_write_b64 v36, v[6:7]
	ds_write_b32 v37, v9
.LBB8_107:                              ;   in Loop: Header=BB8_6 Depth=1
	;; [unrolled: 28-line block ×4, first 2 shown]
	s_or_b64 exec, exec, s[6:7]
	ds_read_b64 v[6:7], v36 offset:8
	s_waitcnt lgkmcnt(1)
	ds_read_b32 v9, v37 offset:4
	s_waitcnt lgkmcnt(1)
	v_cmp_eq_f64_e64 s[6:7], v[4:5], v[6:7]
	s_waitcnt lgkmcnt(0)
	v_cmp_gt_i32_e64 s[16:17], v8, v9
	v_cmp_lt_f64_e32 vcc, v[4:5], v[6:7]
	s_and_b64 s[6:7], s[6:7], s[16:17]
	s_or_b64 s[6:7], vcc, s[6:7]
	s_and_b64 exec, exec, s[6:7]
	s_cbranch_execz .LBB8_117
; %bb.116:                              ;   in Loop: Header=BB8_6 Depth=1
	ds_write_b64 v36, v[6:7]
	ds_write_b32 v37, v9
.LBB8_117:                              ;   in Loop: Header=BB8_6 Depth=1
	s_or_b64 exec, exec, s[20:21]
	s_and_saveexec_b64 s[6:7], s[18:19]
	s_cbranch_execz .LBB8_119
; %bb.118:                              ;   in Loop: Header=BB8_6 Depth=1
	ds_read_b64 v[4:5], v17
	s_waitcnt lgkmcnt(0)
	ds_write_b64 v17, v[4:5] offset:3088
.LBB8_119:                              ;   in Loop: Header=BB8_6 Depth=1
	s_or_b64 exec, exec, s[6:7]
	ds_read_b32 v4, v17 offset:3096
	s_waitcnt lgkmcnt(0)
	v_cmp_le_i32_e32 vcc, s73, v4
	v_readfirstlane_b32 s6, v4
	s_cbranch_vccnz .LBB8_162
; %bb.120:                              ;   in Loop: Header=BB8_6 Depth=1
	s_not_b32 s68, s6
	s_add_i32 s68, s68, s36
	v_cmp_gt_i32_e32 vcc, s68, v10
	v_pk_mov_b32 v[4:5], 0, 0
	v_bfrev_b32_e32 v8, -2
	s_and_saveexec_b64 s[64:65], vcc
	s_cbranch_execz .LBB8_124
; %bb.121:                              ;   in Loop: Header=BB8_6 Depth=1
	s_ashr_i32 s7, s6, 31
	v_lshlrev_b64 v[4:5], 4, v[2:3]
	s_lshl_b64 s[6:7], s[6:7], 4
	v_mov_b32_e32 v3, s7
	v_add_co_u32_e32 v4, vcc, s6, v4
	v_addc_co_u32_e32 v3, vcc, v5, v3, vcc
	v_add_co_u32_e32 v6, vcc, v41, v4
	v_addc_co_u32_e32 v7, vcc, v42, v3, vcc
	s_mov_b64 s[66:67], 0
	v_pk_mov_b32 v[4:5], 0, 0
	v_bfrev_b32_e32 v8, -2
	v_mov_b32_e32 v3, v10
.LBB8_122:                              ;   Parent Loop BB8_6 Depth=1
                                        ; =>  This Inner Loop Header: Depth=2
	global_load_dwordx4 v[24:27], v[6:7], off
	v_add_co_u32_e32 v6, vcc, 0x1000, v6
	v_cmp_eq_u32_e64 s[6:7], s88, v8
	v_add_u32_e32 v9, 1, v3
	v_add_u32_e32 v3, 0x100, v3
	v_addc_co_u32_e32 v7, vcc, 0, v7, vcc
	v_cmp_le_i32_e32 vcc, s68, v3
	s_waitcnt vmcnt(0)
	v_xor_b32_e32 v16, 0x80000000, v25
	v_xor_b32_e32 v21, 0x80000000, v27
	v_cmp_gt_f64_e64 s[16:17], 0, v[26:27]
	v_cmp_gt_f64_e64 s[20:21], 0, v[24:25]
	v_cndmask_b32_e64 v25, v25, v16, s[20:21]
	v_cndmask_b32_e64 v27, v27, v21, s[16:17]
	v_add_f64 v[24:25], v[24:25], v[26:27]
	v_cmp_lt_f64_e64 s[16:17], v[4:5], v[24:25]
	s_or_b64 s[6:7], s[16:17], s[6:7]
	v_cndmask_b32_e64 v8, v8, v9, s[6:7]
	v_cndmask_b32_e64 v5, v5, v25, s[6:7]
	s_or_b64 s[66:67], vcc, s[66:67]
	v_cndmask_b32_e64 v4, v4, v24, s[6:7]
	s_andn2_b64 exec, exec, s[66:67]
	s_cbranch_execnz .LBB8_122
; %bb.123:                              ;   in Loop: Header=BB8_6 Depth=1
	s_or_b64 exec, exec, s[66:67]
.LBB8_124:                              ;   in Loop: Header=BB8_6 Depth=1
	s_or_b64 exec, exec, s[64:65]
	s_cmp_lt_i32 s68, 2
	ds_write_b64 v36, v[4:5]
	ds_write_b32 v37, v8
	s_waitcnt lgkmcnt(0)
	s_barrier
	s_cbranch_scc1 .LBB8_159
; %bb.125:                              ;   in Loop: Header=BB8_6 Depth=1
	s_and_saveexec_b64 s[16:17], s[8:9]
	s_cbranch_execz .LBB8_131
; %bb.126:                              ;   in Loop: Header=BB8_6 Depth=1
	ds_read_b64 v[6:7], v36 offset:1024
	ds_read_b32 v3, v37 offset:512
	s_waitcnt lgkmcnt(1)
	v_cmp_lt_f64_e64 s[20:21], v[4:5], v[6:7]
	v_cmp_nlt_f64_e32 vcc, v[4:5], v[6:7]
	s_and_saveexec_b64 s[64:65], vcc
	s_cbranch_execz .LBB8_128
; %bb.127:                              ;   in Loop: Header=BB8_6 Depth=1
	v_cmp_eq_f64_e32 vcc, v[4:5], v[6:7]
	s_waitcnt lgkmcnt(0)
	v_cmp_gt_i32_e64 s[6:7], v8, v3
	s_and_b64 s[6:7], vcc, s[6:7]
	s_andn2_b64 s[20:21], s[20:21], exec
	s_and_b64 s[6:7], s[6:7], exec
	s_or_b64 s[20:21], s[20:21], s[6:7]
.LBB8_128:                              ;   in Loop: Header=BB8_6 Depth=1
	s_or_b64 exec, exec, s[64:65]
	s_and_saveexec_b64 s[6:7], s[20:21]
	s_cbranch_execz .LBB8_130
; %bb.129:                              ;   in Loop: Header=BB8_6 Depth=1
	v_pk_mov_b32 v[4:5], v[6:7], v[6:7] op_sel:[0,1]
	s_waitcnt lgkmcnt(0)
	v_mov_b32_e32 v8, v3
	ds_write_b64 v36, v[6:7]
	ds_write_b32 v37, v3
.LBB8_130:                              ;   in Loop: Header=BB8_6 Depth=1
	s_or_b64 exec, exec, s[6:7]
.LBB8_131:                              ;   in Loop: Header=BB8_6 Depth=1
	s_or_b64 exec, exec, s[16:17]
	s_waitcnt lgkmcnt(0)
	s_barrier
	s_and_saveexec_b64 s[20:21], s[10:11]
	s_cbranch_execz .LBB8_158
; %bb.132:                              ;   in Loop: Header=BB8_6 Depth=1
	ds_read_b64 v[6:7], v36 offset:512
	ds_read_b32 v3, v37 offset:256
	s_waitcnt lgkmcnt(1)
	v_cmp_lt_f64_e64 s[16:17], v[4:5], v[6:7]
	v_cmp_nlt_f64_e32 vcc, v[4:5], v[6:7]
	s_and_saveexec_b64 s[64:65], vcc
	s_cbranch_execz .LBB8_134
; %bb.133:                              ;   in Loop: Header=BB8_6 Depth=1
	v_cmp_eq_f64_e32 vcc, v[4:5], v[6:7]
	s_waitcnt lgkmcnt(0)
	v_cmp_gt_i32_e64 s[6:7], v8, v3
	s_and_b64 s[6:7], vcc, s[6:7]
	s_andn2_b64 s[16:17], s[16:17], exec
	s_and_b64 s[6:7], s[6:7], exec
	s_or_b64 s[16:17], s[16:17], s[6:7]
.LBB8_134:                              ;   in Loop: Header=BB8_6 Depth=1
	s_or_b64 exec, exec, s[64:65]
	s_and_saveexec_b64 s[6:7], s[16:17]
	s_cbranch_execz .LBB8_136
; %bb.135:                              ;   in Loop: Header=BB8_6 Depth=1
	s_waitcnt lgkmcnt(0)
	v_mov_b32_e32 v8, v3
	v_pk_mov_b32 v[4:5], v[6:7], v[6:7] op_sel:[0,1]
	ds_write_b64 v36, v[6:7]
	ds_write_b32 v37, v3
.LBB8_136:                              ;   in Loop: Header=BB8_6 Depth=1
	s_or_b64 exec, exec, s[6:7]
	ds_read_b64 v[6:7], v36 offset:256
	s_waitcnt lgkmcnt(1)
	ds_read_b32 v3, v37 offset:128
	s_waitcnt lgkmcnt(1)
	v_cmp_lt_f64_e64 s[16:17], v[4:5], v[6:7]
	v_cmp_nlt_f64_e32 vcc, v[4:5], v[6:7]
	s_and_saveexec_b64 s[64:65], vcc
	s_cbranch_execz .LBB8_138
; %bb.137:                              ;   in Loop: Header=BB8_6 Depth=1
	v_cmp_eq_f64_e32 vcc, v[4:5], v[6:7]
	s_waitcnt lgkmcnt(0)
	v_cmp_gt_i32_e64 s[6:7], v8, v3
	s_and_b64 s[6:7], vcc, s[6:7]
	s_andn2_b64 s[16:17], s[16:17], exec
	s_and_b64 s[6:7], s[6:7], exec
	s_or_b64 s[16:17], s[16:17], s[6:7]
.LBB8_138:                              ;   in Loop: Header=BB8_6 Depth=1
	s_or_b64 exec, exec, s[64:65]
	s_and_saveexec_b64 s[6:7], s[16:17]
	s_cbranch_execz .LBB8_140
; %bb.139:                              ;   in Loop: Header=BB8_6 Depth=1
	s_waitcnt lgkmcnt(0)
	v_mov_b32_e32 v8, v3
	v_pk_mov_b32 v[4:5], v[6:7], v[6:7] op_sel:[0,1]
	ds_write_b64 v36, v[6:7]
	ds_write_b32 v37, v3
.LBB8_140:                              ;   in Loop: Header=BB8_6 Depth=1
	s_or_b64 exec, exec, s[6:7]
	ds_read_b64 v[6:7], v36 offset:128
	s_waitcnt lgkmcnt(1)
	;; [unrolled: 28-line block ×6, first 2 shown]
	ds_read_b32 v3, v37 offset:4
	s_waitcnt lgkmcnt(1)
	v_cmp_eq_f64_e64 s[6:7], v[4:5], v[6:7]
	s_waitcnt lgkmcnt(0)
	v_cmp_gt_i32_e64 s[16:17], v8, v3
	v_cmp_lt_f64_e32 vcc, v[4:5], v[6:7]
	s_and_b64 s[6:7], s[6:7], s[16:17]
	s_or_b64 s[6:7], vcc, s[6:7]
	s_and_b64 exec, exec, s[6:7]
	s_cbranch_execz .LBB8_158
; %bb.157:                              ;   in Loop: Header=BB8_6 Depth=1
	ds_write_b64 v36, v[6:7]
	ds_write_b32 v37, v3
.LBB8_158:                              ;   in Loop: Header=BB8_6 Depth=1
	s_or_b64 exec, exec, s[20:21]
.LBB8_159:                              ;   in Loop: Header=BB8_6 Depth=1
	s_and_saveexec_b64 s[6:7], s[18:19]
	s_cbranch_execz .LBB8_161
; %bb.160:                              ;   in Loop: Header=BB8_6 Depth=1
	ds_read_b64 v[4:5], v17 offset:3088
	ds_read_b64 v[6:7], v17
	s_waitcnt lgkmcnt(0)
	v_cmp_lt_f64_e32 vcc, v[4:5], v[6:7]
	v_cndmask_b32_e32 v5, v5, v7, vcc
	v_cndmask_b32_e32 v4, v4, v6, vcc
	ds_write_b64 v17, v[4:5] offset:3088
.LBB8_161:                              ;   in Loop: Header=BB8_6 Depth=1
	s_or_b64 exec, exec, s[6:7]
.LBB8_162:                              ;   in Loop: Header=BB8_6 Depth=1
	s_waitcnt lgkmcnt(0)
	s_barrier
	ds_read_b128 v[6:9], v17 offset:3072
	ds_read_b64 v[4:5], v17 offset:3088
	s_waitcnt lgkmcnt(1)
	v_mul_f64 v[28:29], v[8:9], s[58:59]
	s_waitcnt lgkmcnt(0)
	v_div_scale_f64 v[24:25], s[6:7], v[4:5], v[4:5], v[8:9]
	v_rcp_f64_e32 v[26:27], v[24:25]
	v_fma_f64 v[32:33], -v[24:25], v[26:27], 1.0
	v_fmac_f64_e32 v[26:27], v[26:27], v[32:33]
	v_fma_f64 v[32:33], -v[24:25], v[26:27], 1.0
	v_fmac_f64_e32 v[26:27], v[26:27], v[32:33]
	v_div_scale_f64 v[32:33], vcc, v[8:9], v[4:5], v[8:9]
	v_mul_f64 v[34:35], v[32:33], v[26:27]
	v_fma_f64 v[24:25], -v[24:25], v[34:35], v[32:33]
	s_nop 1
	v_div_fmas_f64 v[24:25], v[24:25], v[26:27], v[34:35]
	v_div_fixup_f64 v[8:9], v[24:25], v[4:5], v[8:9]
	v_mul_f64 v[8:9], v[28:29], v[8:9]
	v_cmp_ge_f64_e32 vcc, v[6:7], v[8:9]
	s_cbranch_vccnz .LBB8_169
; %bb.163:                              ;   in Loop: Header=BB8_6 Depth=1
	ds_read_b32 v16, v17 offset:3096
	v_mov_b32_e32 v3, s39
	v_mul_f64 v[4:5], v[4:5], s[58:59]
	s_mov_b64 s[16:17], 0
	s_waitcnt lgkmcnt(0)
	v_add_u32_e32 v6, v16, v2
	v_ashrrev_i32_e32 v7, 31, v6
	v_lshlrev_b64 v[6:7], 4, v[6:7]
	v_add_co_u32_e32 v6, vcc, s38, v6
	v_addc_co_u32_e32 v7, vcc, v3, v7, vcc
	global_load_dwordx4 v[6:9], v[6:7], off
	s_waitcnt vmcnt(0)
	v_xor_b32_e32 v3, 0x80000000, v7
	v_cmp_gt_f64_e32 vcc, 0, v[6:7]
	v_xor_b32_e32 v21, 0x80000000, v9
	v_cndmask_b32_e32 v7, v7, v3, vcc
	v_cmp_gt_f64_e32 vcc, 0, v[8:9]
	v_cndmask_b32_e32 v9, v9, v21, vcc
	v_add_f64 v[6:7], v[6:7], v[8:9]
	v_cmp_ge_f64_e32 vcc, v[6:7], v[4:5]
	v_mov_b32_e32 v8, 2
	s_and_saveexec_b64 s[6:7], vcc
	s_cbranch_execz .LBB8_168
; %bb.164:                              ;   in Loop: Header=BB8_6 Depth=1
	s_and_saveexec_b64 s[16:17], s[14:15]
	s_cbranch_execz .LBB8_167
; %bb.165:                              ;   in Loop: Header=BB8_6 Depth=1
	v_add3_u32 v4, v10, v20, v12
	v_ashrrev_i32_e32 v5, 31, v4
	v_lshlrev_b64 v[4:5], 4, v[4:5]
	v_add3_u32 v2, v10, v2, v12
	v_mov_b32_e32 v6, s80
	v_add_co_u32_e32 v4, vcc, s79, v4
	v_ashrrev_i32_e32 v3, 31, v2
	v_addc_co_u32_e32 v5, vcc, v6, v5, vcc
	v_lshlrev_b64 v[2:3], 4, v[2:3]
	v_add_co_u32_e32 v2, vcc, s79, v2
	v_addc_co_u32_e32 v3, vcc, v6, v3, vcc
	s_mov_b64 s[14:15], 0
	v_mov_b32_e32 v6, v10
.LBB8_166:                              ;   Parent Loop BB8_6 Depth=1
                                        ; =>  This Inner Loop Header: Depth=2
	global_load_dwordx4 v[24:27], v[2:3], off
	v_add_u32_e32 v6, 0x100, v6
	v_cmp_ge_i32_e32 vcc, v6, v31
	s_or_b64 s[14:15], vcc, s[14:15]
	s_waitcnt vmcnt(0)
	global_store_dwordx4 v[4:5], v[24:27], off
	v_add_co_u32_e32 v4, vcc, 0x1000, v4
	v_addc_co_u32_e32 v5, vcc, 0, v5, vcc
	v_add_co_u32_e32 v2, vcc, 0x1000, v2
	v_addc_co_u32_e32 v3, vcc, 0, v3, vcc
	s_andn2_b64 exec, exec, s[14:15]
	s_cbranch_execnz .LBB8_166
.LBB8_167:                              ;   in Loop: Header=BB8_6 Depth=1
	s_or_b64 exec, exec, s[16:17]
	s_mov_b64 s[16:17], exec
	v_mov_b32_e32 v8, 1
	s_barrier
.LBB8_168:                              ;   in Loop: Header=BB8_6 Depth=1
	s_or_b64 exec, exec, s[6:7]
	s_branch .LBB8_170
.LBB8_169:                              ;   in Loop: Header=BB8_6 Depth=1
	s_mov_b64 s[16:17], -1
	v_mov_b32_e32 v8, 1
	v_mov_b32_e32 v16, v12
.LBB8_170:                              ;   in Loop: Header=BB8_6 Depth=1
	v_add_u32_e32 v2, v8, v12
	v_add_u32_e32 v3, -1, v2
	v_cmp_ne_u32_e32 vcc, v16, v3
	s_and_saveexec_b64 s[14:15], vcc
	s_cbranch_execz .LBB8_186
; %bb.171:                              ;   in Loop: Header=BB8_6 Depth=1
	s_and_saveexec_b64 s[6:7], s[18:19]
	s_cbranch_execz .LBB8_173
; %bb.172:                              ;   in Loop: Header=BB8_6 Depth=1
	v_mul_lo_u32 v4, v3, s74
	v_ashrrev_i32_e32 v5, 31, v4
	v_lshlrev_b64 v[4:5], 4, v[4:5]
	v_mov_b32_e32 v9, s34
	v_add_co_u32_e32 v4, vcc, s33, v4
	v_addc_co_u32_e32 v5, vcc, v9, v5, vcc
	global_load_dwordx4 v[4:7], v[4:5], off
	v_mul_lo_u32 v24, v16, s74
	v_ashrrev_i32_e32 v25, 31, v24
	v_lshlrev_b64 v[24:25], 4, v[24:25]
	v_add_co_u32_e32 v24, vcc, s33, v24
	v_addc_co_u32_e32 v25, vcc, v9, v25, vcc
	s_waitcnt vmcnt(0)
	global_store_dwordx4 v[24:25], v[4:7], off
.LBB8_173:                              ;   in Loop: Header=BB8_6 Depth=1
	s_or_b64 exec, exec, s[6:7]
	v_sub_u32_e32 v9, v16, v2
	v_cmp_gt_i32_e32 vcc, v9, v10
	s_and_saveexec_b64 s[20:21], vcc
	s_cbranch_execz .LBB8_176
; %bb.174:                              ;   in Loop: Header=BB8_6 Depth=1
	v_add3_u32 v4, v10, v8, v12
	v_mad_u64_u32 v[6:7], s[6:7], v3, s35, v[2:3]
	v_mad_u64_u32 v[4:5], s[6:7], s35, v4, v[16:17]
	s_mov_b64 s[64:65], 0
	v_mov_b32_e32 v7, v10
.LBB8_175:                              ;   Parent Loop BB8_6 Depth=1
                                        ; =>  This Inner Loop Header: Depth=2
	v_add_u32_e32 v24, v6, v7
	v_ashrrev_i32_e32 v25, 31, v24
	v_lshlrev_b64 v[24:25], 4, v[24:25]
	v_mov_b32_e32 v21, s34
	v_add_co_u32_e32 v24, vcc, s33, v24
	v_addc_co_u32_e32 v25, vcc, v21, v25, vcc
	global_load_dwordx4 v[24:27], v[24:25], off
	v_ashrrev_i32_e32 v5, 31, v4
	v_add_u32_e32 v7, 0x100, v7
	v_lshlrev_b64 v[28:29], 4, v[4:5]
	v_cmp_ge_i32_e32 vcc, v7, v9
	v_add_co_u32_e64 v28, s[6:7], s33, v28
	v_add_u32_e32 v4, s87, v4
	v_addc_co_u32_e64 v29, s[6:7], v21, v29, s[6:7]
	s_or_b64 s[64:65], vcc, s[64:65]
	s_waitcnt vmcnt(0)
	global_store_dwordx4 v[28:29], v[24:27], off
	s_andn2_b64 exec, exec, s[64:65]
	s_cbranch_execnz .LBB8_175
.LBB8_176:                              ;   in Loop: Header=BB8_6 Depth=1
	s_or_b64 exec, exec, s[20:21]
	v_xad_u32 v6, v16, -1, s36
	v_cmp_gt_i32_e32 vcc, v6, v10
	s_and_saveexec_b64 s[6:7], vcc
	s_cbranch_execz .LBB8_179
; %bb.177:                              ;   in Loop: Header=BB8_6 Depth=1
	v_mul_lo_u32 v3, v3, s35
	v_mad_u64_u32 v[4:5], s[20:21], s74, v16, 1
	v_add3_u32 v3, v16, v3, 1
	s_mov_b64 s[20:21], 0
	v_mov_b32_e32 v5, v10
.LBB8_178:                              ;   Parent Loop BB8_6 Depth=1
                                        ; =>  This Inner Loop Header: Depth=2
	v_add_u32_e32 v24, v3, v5
	v_ashrrev_i32_e32 v25, 31, v24
	v_lshlrev_b64 v[24:25], 4, v[24:25]
	v_mov_b32_e32 v7, s34
	v_add_co_u32_e32 v24, vcc, s33, v24
	v_addc_co_u32_e32 v25, vcc, v7, v25, vcc
	global_load_dwordx4 v[24:27], v[24:25], off
	v_add_u32_e32 v28, v4, v5
	v_add_u32_e32 v5, 0x100, v5
	v_ashrrev_i32_e32 v29, 31, v28
	v_cmp_ge_i32_e32 vcc, v5, v6
	v_lshlrev_b64 v[28:29], 4, v[28:29]
	s_or_b64 s[20:21], vcc, s[20:21]
	v_add_co_u32_e32 v28, vcc, s33, v28
	v_addc_co_u32_e32 v29, vcc, v7, v29, vcc
	s_waitcnt vmcnt(0)
	global_store_dwordx4 v[28:29], v[24:27], off
	s_andn2_b64 exec, exec, s[20:21]
	s_cbranch_execnz .LBB8_178
.LBB8_179:                              ;   in Loop: Header=BB8_6 Depth=1
	s_or_b64 exec, exec, s[6:7]
	v_cmp_gt_u32_e32 vcc, v12, v10
	s_barrier
	s_and_saveexec_b64 s[6:7], vcc
	s_cbranch_execz .LBB8_182
; %bb.180:                              ;   in Loop: Header=BB8_6 Depth=1
	v_ashrrev_i32_e32 v3, 31, v2
	s_mov_b64 s[20:21], 0
	v_mov_b32_e32 v4, v45
	v_mov_b32_e32 v5, v10
.LBB8_181:                              ;   Parent Loop BB8_6 Depth=1
                                        ; =>  This Inner Loop Header: Depth=2
	v_ashrrev_i32_e32 v7, 31, v4
	v_add_co_u32_e32 v24, vcc, v4, v2
	v_addc_co_u32_e32 v25, vcc, v7, v3, vcc
	v_add_u32_e32 v6, v16, v4
	v_lshlrev_b64 v[24:25], 4, v[24:25]
	v_mov_b32_e32 v9, s78
	v_ashrrev_i32_e32 v7, 31, v6
	v_add_co_u32_e32 v28, vcc, s77, v24
	v_lshlrev_b64 v[6:7], 4, v[6:7]
	v_addc_co_u32_e32 v29, vcc, v9, v25, vcc
	v_mov_b32_e32 v21, s34
	v_add_co_u32_e32 v6, vcc, s33, v6
	v_addc_co_u32_e32 v7, vcc, v21, v7, vcc
	global_load_dwordx4 v[24:27], v[6:7], off
	global_load_dwordx4 v[32:35], v[28:29], off
	v_add_u32_e32 v5, 0x100, v5
	v_cmp_ge_u32_e32 vcc, v5, v12
	v_add_u32_e32 v4, s87, v4
	s_or_b64 s[20:21], vcc, s[20:21]
	s_waitcnt vmcnt(1)
	global_store_dwordx4 v[28:29], v[24:27], off
	s_waitcnt vmcnt(1)
	global_store_dwordx4 v[6:7], v[32:35], off
	s_andn2_b64 exec, exec, s[20:21]
	s_cbranch_execnz .LBB8_181
.LBB8_182:                              ;   in Loop: Header=BB8_6 Depth=1
	s_or_b64 exec, exec, s[6:7]
	v_cmp_gt_u32_e32 vcc, v2, v10
	s_and_b64 exec, exec, vcc
	s_cbranch_execz .LBB8_185
; %bb.183:                              ;   in Loop: Header=BB8_6 Depth=1
	v_add_co_u32_e32 v3, vcc, v14, v8
	v_addc_co_u32_e32 v5, vcc, 0, v1, vcc
	v_add_co_u32_e32 v4, vcc, v3, v12
	v_addc_co_u32_e32 v5, vcc, 0, v5, vcc
	v_lshlrev_b64 v[4:5], 4, v[4:5]
	v_add_co_u32_e32 v3, vcc, -16, v4
	v_add_u32_e32 v4, v14, v16
	v_addc_co_u32_e32 v6, vcc, -1, v5, vcc
	v_ashrrev_i32_e32 v5, 31, v4
	v_lshlrev_b64 v[4:5], 4, v[4:5]
	s_mov_b64 s[20:21], 0
	s_mov_b64 s[64:65], s[38:39]
	v_mov_b32_e32 v7, v10
.LBB8_184:                              ;   Parent Loop BB8_6 Depth=1
                                        ; =>  This Inner Loop Header: Depth=2
	v_mov_b32_e32 v9, s65
	v_add_co_u32_e32 v8, vcc, s64, v4
	v_add_co_u32_e64 v28, s[6:7], s64, v3
	v_addc_co_u32_e64 v29, s[6:7], v9, v6, s[6:7]
	v_addc_co_u32_e32 v9, vcc, v9, v5, vcc
	global_load_dwordx4 v[24:27], v[8:9], off
	global_load_dwordx4 v[32:35], v[28:29], off
	v_add_u32_e32 v7, 0x100, v7
	s_add_u32 s64, s64, s52
	s_addc_u32 s65, s65, s53
	v_cmp_ge_u32_e32 vcc, v7, v2
	s_or_b64 s[20:21], vcc, s[20:21]
	s_waitcnt vmcnt(1)
	global_store_dwordx4 v[28:29], v[24:27], off
	s_waitcnt vmcnt(1)
	global_store_dwordx4 v[8:9], v[32:35], off
	s_andn2_b64 exec, exec, s[20:21]
	s_cbranch_execnz .LBB8_184
.LBB8_185:                              ;   in Loop: Header=BB8_6 Depth=1
	s_barrier
.LBB8_186:                              ;   in Loop: Header=BB8_6 Depth=1
	s_or_b64 exec, exec, s[14:15]
	s_xor_b64 s[14:15], s[16:17], -1
                                        ; implicit-def: $sgpr20
                                        ; implicit-def: $sgpr6_sgpr7
	s_and_saveexec_b64 s[16:17], s[14:15]
	s_xor_b64 s[16:17], exec, s[16:17]
	s_cbranch_execz .LBB8_206
; %bb.187:                              ;   in Loop: Header=BB8_6 Depth=1
	v_cmp_gt_i32_e32 vcc, s75, v12
	v_add_u32_e32 v24, v20, v47
	s_and_saveexec_b64 s[20:21], vcc
	s_cbranch_execz .LBB8_203
; %bb.188:                              ;   in Loop: Header=BB8_6 Depth=1
	v_ashrrev_i32_e32 v25, 31, v24
	v_lshlrev_b64 v[2:3], 4, v[24:25]
	v_mov_b32_e32 v4, s39
	v_add_co_u32_e32 v2, vcc, s38, v2
	v_mul_lo_u32 v25, v47, s36
	v_addc_co_u32_e32 v3, vcc, v4, v3, vcc
	v_add_u32_e32 v6, v25, v47
	global_load_dwordx4 v[2:5], v[2:3], off
	v_ashrrev_i32_e32 v7, 31, v6
	v_lshlrev_b64 v[6:7], 4, v[6:7]
	v_mov_b32_e32 v8, s39
	v_add_co_u32_e32 v6, vcc, s38, v6
	v_addc_co_u32_e32 v7, vcc, v8, v7, vcc
	global_load_dwordx4 v[6:9], v[6:7], off
	s_waitcnt vmcnt(1)
	v_xor_b32_e32 v21, 0x80000000, v3
	v_cmp_gt_f64_e32 vcc, 0, v[2:3]
	v_xor_b32_e32 v28, 0x80000000, v5
	v_cndmask_b32_e32 v27, v3, v21, vcc
	v_cmp_gt_f64_e32 vcc, 0, v[4:5]
	v_mov_b32_e32 v26, v2
	v_cndmask_b32_e32 v29, v5, v28, vcc
	v_mov_b32_e32 v28, v4
	v_cmp_ngt_f64_e64 s[14:15], v[26:27], v[28:29]
                                        ; implicit-def: $vgpr26_vgpr27
                                        ; implicit-def: $vgpr28_vgpr29
	s_and_saveexec_b64 s[6:7], s[14:15]
	s_xor_b64 s[6:7], exec, s[6:7]
	s_cbranch_execz .LBB8_190
; %bb.189:                              ;   in Loop: Header=BB8_6 Depth=1
	v_div_scale_f64 v[26:27], s[64:65], v[4:5], v[4:5], v[2:3]
	v_rcp_f64_e32 v[28:29], v[26:27]
	v_div_scale_f64 v[30:31], vcc, v[2:3], v[4:5], v[2:3]
	v_fma_f64 v[32:33], -v[26:27], v[28:29], 1.0
	v_fmac_f64_e32 v[28:29], v[28:29], v[32:33]
	v_fma_f64 v[32:33], -v[26:27], v[28:29], 1.0
	v_fmac_f64_e32 v[28:29], v[28:29], v[32:33]
	v_mul_f64 v[32:33], v[30:31], v[28:29]
	v_fma_f64 v[26:27], -v[26:27], v[32:33], v[30:31]
	v_div_fmas_f64 v[26:27], v[26:27], v[28:29], v[32:33]
	v_div_fixup_f64 v[28:29], v[26:27], v[4:5], v[2:3]
	v_fma_f64 v[26:27], v[2:3], v[28:29], v[4:5]
	v_div_scale_f64 v[30:31], s[64:65], v[26:27], v[26:27], 1.0
	v_rcp_f64_e32 v[32:33], v[30:31]
	v_fma_f64 v[34:35], -v[30:31], v[32:33], 1.0
	v_fmac_f64_e32 v[32:33], v[32:33], v[34:35]
	v_fma_f64 v[34:35], -v[30:31], v[32:33], 1.0
	v_fmac_f64_e32 v[32:33], v[32:33], v[34:35]
	v_div_scale_f64 v[34:35], vcc, 1.0, v[26:27], 1.0
	v_mul_f64 v[48:49], v[34:35], v[32:33]
	v_fma_f64 v[30:31], -v[30:31], v[48:49], v[34:35]
	s_nop 1
	v_div_fmas_f64 v[30:31], v[30:31], v[32:33], v[48:49]
	v_div_fixup_f64 v[30:31], v[30:31], v[26:27], 1.0
	s_waitcnt vmcnt(0)
	v_fma_f64 v[26:27], v[28:29], v[6:7], v[8:9]
	v_fma_f64 v[6:7], v[28:29], v[8:9], -v[6:7]
	v_mul_f64 v[26:27], v[26:27], v[30:31]
	v_mul_f64 v[28:29], v[30:31], v[6:7]
                                        ; implicit-def: $vgpr8_vgpr9
.LBB8_190:                              ;   in Loop: Header=BB8_6 Depth=1
	s_andn2_saveexec_b64 s[6:7], s[6:7]
	s_cbranch_execz .LBB8_192
; %bb.191:                              ;   in Loop: Header=BB8_6 Depth=1
	v_div_scale_f64 v[26:27], s[64:65], v[2:3], v[2:3], v[4:5]
	v_rcp_f64_e32 v[28:29], v[26:27]
	v_div_scale_f64 v[30:31], vcc, v[4:5], v[2:3], v[4:5]
	v_fma_f64 v[32:33], -v[26:27], v[28:29], 1.0
	v_fmac_f64_e32 v[28:29], v[28:29], v[32:33]
	v_fma_f64 v[32:33], -v[26:27], v[28:29], 1.0
	v_fmac_f64_e32 v[28:29], v[28:29], v[32:33]
	v_mul_f64 v[32:33], v[30:31], v[28:29]
	v_fma_f64 v[26:27], -v[26:27], v[32:33], v[30:31]
	v_div_fmas_f64 v[26:27], v[26:27], v[28:29], v[32:33]
	v_div_fixup_f64 v[28:29], v[26:27], v[2:3], v[4:5]
	v_fma_f64 v[26:27], v[4:5], v[28:29], v[2:3]
	v_div_scale_f64 v[30:31], s[64:65], v[26:27], v[26:27], 1.0
	v_rcp_f64_e32 v[32:33], v[30:31]
	v_fma_f64 v[34:35], -v[30:31], v[32:33], 1.0
	v_fmac_f64_e32 v[32:33], v[32:33], v[34:35]
	v_fma_f64 v[34:35], -v[30:31], v[32:33], 1.0
	v_fmac_f64_e32 v[32:33], v[32:33], v[34:35]
	v_div_scale_f64 v[34:35], vcc, 1.0, v[26:27], 1.0
	v_mul_f64 v[48:49], v[34:35], v[32:33]
	v_fma_f64 v[30:31], -v[30:31], v[48:49], v[34:35]
	s_nop 1
	v_div_fmas_f64 v[30:31], v[30:31], v[32:33], v[48:49]
	v_div_fixup_f64 v[30:31], v[30:31], v[26:27], 1.0
	s_waitcnt vmcnt(0)
	v_fma_f64 v[26:27], v[28:29], v[8:9], v[6:7]
	v_fma_f64 v[6:7], -v[28:29], v[6:7], v[8:9]
	v_mul_f64 v[26:27], v[30:31], v[26:27]
	v_mul_f64 v[28:29], v[6:7], v[30:31]
.LBB8_192:                              ;   in Loop: Header=BB8_6 Depth=1
	s_or_b64 exec, exec, s[6:7]
	global_load_dwordx4 v[6:9], v[18:19], off
                                        ; implicit-def: $vgpr30_vgpr31
                                        ; implicit-def: $vgpr32_vgpr33
	s_and_saveexec_b64 s[6:7], s[14:15]
	s_xor_b64 s[6:7], exec, s[6:7]
	s_cbranch_execz .LBB8_194
; %bb.193:                              ;   in Loop: Header=BB8_6 Depth=1
	v_div_scale_f64 v[30:31], s[14:15], v[4:5], v[4:5], v[2:3]
	v_rcp_f64_e32 v[32:33], v[30:31]
	v_div_scale_f64 v[34:35], vcc, v[2:3], v[4:5], v[2:3]
	v_fma_f64 v[48:49], -v[30:31], v[32:33], 1.0
	v_fmac_f64_e32 v[32:33], v[32:33], v[48:49]
	v_fma_f64 v[48:49], -v[30:31], v[32:33], 1.0
	v_fmac_f64_e32 v[32:33], v[32:33], v[48:49]
	v_mul_f64 v[48:49], v[34:35], v[32:33]
	v_fma_f64 v[30:31], -v[30:31], v[48:49], v[34:35]
	v_div_fmas_f64 v[30:31], v[30:31], v[32:33], v[48:49]
	v_div_fixup_f64 v[32:33], v[30:31], v[4:5], v[2:3]
	v_fma_f64 v[30:31], v[2:3], v[32:33], v[4:5]
	v_div_scale_f64 v[34:35], s[14:15], v[30:31], v[30:31], 1.0
	v_rcp_f64_e32 v[48:49], v[34:35]
	v_fma_f64 v[50:51], -v[34:35], v[48:49], 1.0
	v_fmac_f64_e32 v[48:49], v[48:49], v[50:51]
	v_fma_f64 v[50:51], -v[34:35], v[48:49], 1.0
	v_fmac_f64_e32 v[48:49], v[48:49], v[50:51]
	v_div_scale_f64 v[50:51], vcc, 1.0, v[30:31], 1.0
	v_mul_f64 v[52:53], v[50:51], v[48:49]
	v_fma_f64 v[34:35], -v[34:35], v[52:53], v[50:51]
	s_nop 1
	v_div_fmas_f64 v[34:35], v[34:35], v[48:49], v[52:53]
	v_div_fixup_f64 v[34:35], v[34:35], v[30:31], 1.0
	s_waitcnt vmcnt(0)
	v_fma_f64 v[30:31], v[32:33], v[6:7], v[8:9]
	v_fma_f64 v[6:7], v[32:33], v[8:9], -v[6:7]
	v_mul_f64 v[30:31], v[34:35], v[30:31]
	v_mul_f64 v[32:33], v[34:35], v[6:7]
                                        ; implicit-def: $vgpr8_vgpr9
.LBB8_194:                              ;   in Loop: Header=BB8_6 Depth=1
	s_andn2_saveexec_b64 s[6:7], s[6:7]
	s_cbranch_execz .LBB8_196
; %bb.195:                              ;   in Loop: Header=BB8_6 Depth=1
	v_div_scale_f64 v[30:31], s[14:15], v[2:3], v[2:3], v[4:5]
	v_rcp_f64_e32 v[32:33], v[30:31]
	v_div_scale_f64 v[34:35], vcc, v[4:5], v[2:3], v[4:5]
	v_fma_f64 v[48:49], -v[30:31], v[32:33], 1.0
	v_fmac_f64_e32 v[32:33], v[32:33], v[48:49]
	v_fma_f64 v[48:49], -v[30:31], v[32:33], 1.0
	v_fmac_f64_e32 v[32:33], v[32:33], v[48:49]
	v_mul_f64 v[48:49], v[34:35], v[32:33]
	v_fma_f64 v[30:31], -v[30:31], v[48:49], v[34:35]
	v_div_fmas_f64 v[30:31], v[30:31], v[32:33], v[48:49]
	v_div_fixup_f64 v[32:33], v[30:31], v[2:3], v[4:5]
	v_fma_f64 v[30:31], v[4:5], v[32:33], v[2:3]
	v_div_scale_f64 v[34:35], s[14:15], v[30:31], v[30:31], 1.0
	v_rcp_f64_e32 v[48:49], v[34:35]
	v_fma_f64 v[50:51], -v[34:35], v[48:49], 1.0
	v_fmac_f64_e32 v[48:49], v[48:49], v[50:51]
	v_fma_f64 v[50:51], -v[34:35], v[48:49], 1.0
	v_fmac_f64_e32 v[48:49], v[48:49], v[50:51]
	v_div_scale_f64 v[50:51], vcc, 1.0, v[30:31], 1.0
	v_mul_f64 v[52:53], v[50:51], v[48:49]
	v_fma_f64 v[34:35], -v[34:35], v[52:53], v[50:51]
	s_nop 1
	v_div_fmas_f64 v[34:35], v[34:35], v[48:49], v[52:53]
	v_div_fixup_f64 v[34:35], v[34:35], v[30:31], 1.0
	s_waitcnt vmcnt(0)
	v_fma_f64 v[30:31], v[32:33], v[8:9], v[6:7]
	v_fma_f64 v[6:7], -v[32:33], v[6:7], v[8:9]
	v_mul_f64 v[30:31], v[34:35], v[30:31]
	v_mul_f64 v[32:33], v[34:35], v[6:7]
.LBB8_196:                              ;   in Loop: Header=BB8_6 Depth=1
	s_or_b64 exec, exec, s[6:7]
	s_waitcnt vmcnt(0)
	v_mul_f64 v[6:7], v[28:29], v[32:33]
	v_mul_f64 v[34:35], v[28:29], v[30:31]
	v_fma_f64 v[6:7], v[26:27], v[30:31], -v[6:7]
	v_fmac_f64_e32 v[34:35], v[26:27], v[32:33]
	v_add_f64 v[8:9], v[6:7], -1.0
	v_mul_f64 v[6:7], v[4:5], v[34:35]
	v_fma_f64 v[6:7], v[2:3], v[8:9], -v[6:7]
	v_mul_f64 v[8:9], v[4:5], v[8:9]
	v_fmac_f64_e32 v[8:9], v[2:3], v[34:35]
	v_xor_b32_e32 v2, 0x80000000, v7
	v_cmp_gt_f64_e32 vcc, 0, v[6:7]
	v_cndmask_b32_e32 v3, v7, v2, vcc
	v_cndmask_b32_e32 v2, v6, v6, vcc
	v_xor_b32_e32 v4, 0x80000000, v9
	v_cmp_gt_f64_e32 vcc, 0, v[8:9]
	v_cndmask_b32_e32 v5, v9, v4, vcc
	v_cndmask_b32_e32 v4, v8, v8, vcc
	v_cmp_ngt_f64_e32 vcc, v[2:3], v[4:5]
                                        ; implicit-def: $vgpr2_vgpr3
                                        ; implicit-def: $vgpr4_vgpr5
	s_and_saveexec_b64 s[6:7], vcc
	s_xor_b64 s[6:7], exec, s[6:7]
	s_cbranch_execz .LBB8_198
; %bb.197:                              ;   in Loop: Header=BB8_6 Depth=1
	v_div_scale_f64 v[2:3], s[14:15], v[8:9], v[8:9], v[6:7]
	v_rcp_f64_e32 v[4:5], v[2:3]
	v_div_scale_f64 v[34:35], vcc, v[6:7], v[8:9], v[6:7]
	v_fma_f64 v[48:49], -v[2:3], v[4:5], 1.0
	v_fmac_f64_e32 v[4:5], v[4:5], v[48:49]
	v_fma_f64 v[48:49], -v[2:3], v[4:5], 1.0
	v_fmac_f64_e32 v[4:5], v[4:5], v[48:49]
	v_mul_f64 v[48:49], v[34:35], v[4:5]
	v_fma_f64 v[2:3], -v[2:3], v[48:49], v[34:35]
	v_div_fmas_f64 v[2:3], v[2:3], v[4:5], v[48:49]
	v_div_fixup_f64 v[4:5], v[2:3], v[8:9], v[6:7]
	v_fmac_f64_e32 v[8:9], v[6:7], v[4:5]
	v_div_scale_f64 v[2:3], s[14:15], v[8:9], v[8:9], 1.0
	v_rcp_f64_e32 v[6:7], v[2:3]
	v_fma_f64 v[34:35], -v[2:3], v[6:7], 1.0
	v_fmac_f64_e32 v[6:7], v[6:7], v[34:35]
	v_fma_f64 v[34:35], -v[2:3], v[6:7], 1.0
	v_fmac_f64_e32 v[6:7], v[6:7], v[34:35]
	v_div_scale_f64 v[34:35], vcc, 1.0, v[8:9], 1.0
	v_mul_f64 v[48:49], v[34:35], v[6:7]
	v_fma_f64 v[2:3], -v[2:3], v[48:49], v[34:35]
	s_nop 1
	v_div_fmas_f64 v[2:3], v[2:3], v[6:7], v[48:49]
	v_div_fixup_f64 v[6:7], v[2:3], v[8:9], 1.0
	v_add_f64 v[2:3], v[4:5], 0
	v_fma_f64 v[4:5], v[4:5], 0, -1.0
	v_mul_f64 v[2:3], v[2:3], v[6:7]
	v_mul_f64 v[4:5], v[4:5], v[6:7]
                                        ; implicit-def: $vgpr6_vgpr7
                                        ; implicit-def: $vgpr8_vgpr9
.LBB8_198:                              ;   in Loop: Header=BB8_6 Depth=1
	s_andn2_saveexec_b64 s[6:7], s[6:7]
	s_cbranch_execz .LBB8_200
; %bb.199:                              ;   in Loop: Header=BB8_6 Depth=1
	v_div_scale_f64 v[2:3], s[14:15], v[6:7], v[6:7], v[8:9]
	v_rcp_f64_e32 v[4:5], v[2:3]
	v_div_scale_f64 v[34:35], vcc, v[8:9], v[6:7], v[8:9]
	v_fma_f64 v[48:49], -v[2:3], v[4:5], 1.0
	v_fmac_f64_e32 v[4:5], v[4:5], v[48:49]
	v_fma_f64 v[48:49], -v[2:3], v[4:5], 1.0
	v_fmac_f64_e32 v[4:5], v[4:5], v[48:49]
	v_mul_f64 v[48:49], v[34:35], v[4:5]
	v_fma_f64 v[2:3], -v[2:3], v[48:49], v[34:35]
	v_div_fmas_f64 v[2:3], v[2:3], v[4:5], v[48:49]
	v_div_fixup_f64 v[4:5], v[2:3], v[6:7], v[8:9]
	v_fmac_f64_e32 v[6:7], v[8:9], v[4:5]
	v_div_scale_f64 v[2:3], s[14:15], v[6:7], v[6:7], 1.0
	v_rcp_f64_e32 v[8:9], v[2:3]
	v_fma_f64 v[34:35], -v[2:3], v[8:9], 1.0
	v_fmac_f64_e32 v[8:9], v[8:9], v[34:35]
	v_fma_f64 v[34:35], -v[2:3], v[8:9], 1.0
	v_fmac_f64_e32 v[8:9], v[8:9], v[34:35]
	v_div_scale_f64 v[34:35], vcc, 1.0, v[6:7], 1.0
	v_mul_f64 v[48:49], v[34:35], v[8:9]
	v_fma_f64 v[2:3], -v[2:3], v[48:49], v[34:35]
	s_nop 1
	v_div_fmas_f64 v[2:3], v[2:3], v[8:9], v[48:49]
	v_div_fixup_f64 v[6:7], v[2:3], v[6:7], 1.0
	v_fma_f64 v[2:3], v[4:5], 0, 1.0
	v_add_f64 v[4:5], -v[4:5], 0
	v_mul_f64 v[2:3], v[2:3], v[6:7]
	v_mul_f64 v[4:5], v[4:5], v[6:7]
.LBB8_200:                              ;   in Loop: Header=BB8_6 Depth=1
	s_or_b64 exec, exec, s[6:7]
	v_add_u32_e32 v48, v12, v38
	v_cmp_gt_i32_e32 vcc, s36, v48
	s_and_b64 exec, exec, vcc
	s_cbranch_execz .LBB8_203
; %bb.201:                              ;   in Loop: Header=BB8_6 Depth=1
	v_add3_u32 v8, v38, v20, v12
	v_ashrrev_i32_e32 v9, 31, v8
	v_lshlrev_b64 v[8:9], 4, v[8:9]
	v_mul_lo_u32 v7, s74, v12
	v_mov_b32_e32 v20, s86
	v_add_co_u32_e32 v8, vcc, s85, v8
	v_addc_co_u32_e32 v9, vcc, v20, v9, vcc
	v_add_u32_e32 v20, v38, v7
	v_ashrrev_i32_e32 v21, 31, v20
	v_lshlrev_b64 v[20:21], 4, v[20:21]
	v_add_u32_e32 v34, v48, v25
	v_add_u32_e32 v6, v46, v7
	v_mov_b32_e32 v7, s84
	v_add_co_u32_e32 v20, vcc, s83, v20
	v_ashrrev_i32_e32 v35, 31, v34
	v_addc_co_u32_e32 v21, vcc, v7, v21, vcc
	v_lshlrev_b64 v[34:35], 4, v[34:35]
	v_mov_b32_e32 v7, s86
	v_add_co_u32_e32 v34, vcc, s85, v34
	v_addc_co_u32_e32 v35, vcc, v7, v35, vcc
	s_mov_b64 s[14:15], 0
.LBB8_202:                              ;   Parent Loop BB8_6 Depth=1
                                        ; =>  This Inner Loop Header: Depth=2
	global_load_dwordx4 v[50:53], v[8:9], off offset:-8
	global_load_dwordx4 v[54:57], v[34:35], off offset:-8
	v_add_u32_e32 v48, 0x100, v48
	v_cmp_le_i32_e32 vcc, s36, v48
	s_or_b64 s[14:15], vcc, s[14:15]
	v_ashrrev_i32_e32 v7, 31, v6
	v_mov_b32_e32 v25, s34
	s_waitcnt vmcnt(1)
	v_mul_f64 v[58:59], v[28:29], v[52:53]
	v_mul_f64 v[52:53], v[26:27], v[52:53]
	v_fma_f64 v[58:59], v[26:27], v[50:51], -v[58:59]
	v_fmac_f64_e32 v[52:53], v[28:29], v[50:51]
	s_waitcnt vmcnt(0)
	v_add_f64 v[50:51], v[58:59], -v[54:55]
	v_add_f64 v[54:55], v[52:53], -v[56:57]
	v_mul_f64 v[56:57], v[4:5], v[54:55]
	v_mul_f64 v[52:53], v[4:5], v[50:51]
	v_fma_f64 v[50:51], v[2:3], v[50:51], -v[56:57]
	v_fmac_f64_e32 v[52:53], v[2:3], v[54:55]
	global_store_dwordx4 v[20:21], v[50:53], off offset:-8
	global_load_dwordx4 v[50:53], v[34:35], off offset:-8
	s_nop 0
	global_load_dwordx4 v[54:57], v[8:9], off offset:-8
	v_add_co_u32_e32 v8, vcc, s89, v8
	v_addc_co_u32_e32 v9, vcc, 0, v9, vcc
	v_add_co_u32_e32 v20, vcc, 0x1000, v20
	v_lshlrev_b64 v[58:59], 4, v[6:7]
	v_addc_co_u32_e32 v21, vcc, 0, v21, vcc
	v_add_co_u32_e64 v58, s[6:7], s33, v58
	v_add_co_u32_e32 v34, vcc, 0x1000, v34
	v_add_u32_e32 v6, 0x100, v6
	v_addc_co_u32_e64 v59, s[6:7], v25, v59, s[6:7]
	v_addc_co_u32_e32 v35, vcc, 0, v35, vcc
	s_waitcnt vmcnt(1)
	v_mul_f64 v[60:61], v[32:33], v[52:53]
	v_mul_f64 v[52:53], v[30:31], v[52:53]
	v_fma_f64 v[60:61], v[30:31], v[50:51], -v[60:61]
	v_fmac_f64_e32 v[52:53], v[32:33], v[50:51]
	s_waitcnt vmcnt(0)
	v_add_f64 v[50:51], v[60:61], -v[54:55]
	v_add_f64 v[54:55], v[52:53], -v[56:57]
	v_mul_f64 v[56:57], v[4:5], v[54:55]
	v_mul_f64 v[52:53], v[4:5], v[50:51]
	v_fma_f64 v[50:51], v[2:3], v[50:51], -v[56:57]
	v_fmac_f64_e32 v[52:53], v[2:3], v[54:55]
	global_store_dwordx4 v[58:59], v[50:53], off
	s_andn2_b64 exec, exec, s[14:15]
	s_cbranch_execnz .LBB8_202
.LBB8_203:                              ;   in Loop: Header=BB8_6 Depth=1
	s_or_b64 exec, exec, s[20:21]
	s_and_saveexec_b64 s[6:7], s[18:19]
	s_cbranch_execz .LBB8_205
; %bb.204:                              ;   in Loop: Header=BB8_6 Depth=1
	global_load_dwordx4 v[2:5], v[18:19], off
	v_mov_b32_e32 v20, s34
	v_ashrrev_i32_e32 v25, 31, v24
	v_add_co_u32_e32 v22, vcc, s33, v22
	v_mul_lo_u32 v6, v12, s35
	v_addc_co_u32_e32 v23, vcc, v20, v23, vcc
	v_lshlrev_b64 v[8:9], 4, v[24:25]
	v_mov_b32_e32 v21, s39
	v_ashrrev_i32_e32 v7, 31, v6
	v_add_co_u32_e32 v8, vcc, s38, v8
	v_lshlrev_b64 v[18:19], 4, v[6:7]
	v_addc_co_u32_e32 v9, vcc, v21, v9, vcc
	v_add_co_u32_e32 v18, vcc, v22, v18
	v_addc_co_u32_e32 v19, vcc, v23, v19, vcc
	v_add_u32_e32 v6, v47, v6
	v_ashrrev_i32_e32 v7, 31, v6
	v_lshlrev_b64 v[6:7], 4, v[6:7]
	v_add_co_u32_e32 v6, vcc, s33, v6
	v_addc_co_u32_e32 v7, vcc, v20, v7, vcc
	s_waitcnt vmcnt(0)
	global_store_dwordx4 v[18:19], v[2:5], off
	global_load_dwordx4 v[2:5], v[8:9], off
	v_mul_lo_u32 v8, v47, s76
	v_ashrrev_i32_e32 v9, 31, v8
	v_lshlrev_b64 v[8:9], 4, v[8:9]
	v_mov_b32_e32 v18, s39
	s_waitcnt vmcnt(0)
	global_store_dwordx4 v[6:7], v[2:5], off
	s_nop 0
	v_add_co_u32_e32 v2, vcc, s38, v8
	v_addc_co_u32_e32 v3, vcc, v18, v9, vcc
	global_load_dwordx4 v[2:5], v[2:3], off
	v_mul_lo_u32 v6, v47, s74
	v_ashrrev_i32_e32 v7, 31, v6
	v_lshlrev_b64 v[6:7], 4, v[6:7]
	v_add_co_u32_e32 v6, vcc, s33, v6
	v_addc_co_u32_e32 v7, vcc, v20, v7, vcc
	s_waitcnt vmcnt(0)
	global_store_dwordx4 v[6:7], v[2:5], off
.LBB8_205:                              ;   in Loop: Header=BB8_6 Depth=1
	s_or_b64 exec, exec, s[6:7]
	s_mov_b64 s[6:7], 0
	s_mov_b32 s20, 2
	s_barrier
	s_waitcnt lgkmcnt(0)
                                        ; implicit-def: $vgpr18_vgpr19
                                        ; implicit-def: $vgpr30
                                        ; implicit-def: $vgpr20_vgpr21
.LBB8_206:                              ;   in Loop: Header=BB8_6 Depth=1
	s_or_saveexec_b64 s[14:15], s[16:17]
	v_mov_b32_e32 v4, s20
	s_xor_b64 exec, exec, s[14:15]
	s_cbranch_execz .LBB8_217
; %bb.207:                              ;   in Loop: Header=BB8_6 Depth=1
	global_load_dwordx4 v[2:5], v[18:19], off
	s_waitcnt vmcnt(0)
	v_xor_b32_e32 v7, 0x80000000, v3
	v_cmp_gt_f64_e32 vcc, 0, v[2:3]
	v_xor_b32_e32 v8, 0x80000000, v5
	v_cndmask_b32_e32 v7, v3, v7, vcc
	v_cmp_gt_f64_e32 vcc, 0, v[4:5]
	v_mov_b32_e32 v6, v2
	v_cndmask_b32_e32 v9, v5, v8, vcc
	v_mov_b32_e32 v8, v4
	v_cmp_ngt_f64_e32 vcc, v[6:7], v[8:9]
                                        ; implicit-def: $vgpr6_vgpr7
                                        ; implicit-def: $vgpr8_vgpr9
	s_and_saveexec_b64 s[16:17], vcc
	s_xor_b64 s[16:17], exec, s[16:17]
	s_cbranch_execnz .LBB8_211
; %bb.208:                              ;   in Loop: Header=BB8_6 Depth=1
	s_andn2_saveexec_b64 s[16:17], s[16:17]
	s_cbranch_execnz .LBB8_212
.LBB8_209:                              ;   in Loop: Header=BB8_6 Depth=1
	s_or_b64 exec, exec, s[16:17]
	s_and_saveexec_b64 s[16:17], s[18:19]
	s_cbranch_execnz .LBB8_213
.LBB8_210:                              ;   in Loop: Header=BB8_6 Depth=1
	s_or_b64 exec, exec, s[16:17]
	s_and_saveexec_b64 s[16:17], s[12:13]
	s_cbranch_execnz .LBB8_214
	s_branch .LBB8_216
.LBB8_211:                              ;   in Loop: Header=BB8_6 Depth=1
	v_div_scale_f64 v[6:7], s[20:21], v[4:5], v[4:5], v[2:3]
	v_rcp_f64_e32 v[8:9], v[6:7]
	v_div_scale_f64 v[22:23], vcc, v[2:3], v[4:5], v[2:3]
	v_fma_f64 v[24:25], -v[6:7], v[8:9], 1.0
	v_fmac_f64_e32 v[8:9], v[8:9], v[24:25]
	v_fma_f64 v[24:25], -v[6:7], v[8:9], 1.0
	v_fmac_f64_e32 v[8:9], v[8:9], v[24:25]
	v_mul_f64 v[24:25], v[22:23], v[8:9]
	v_fma_f64 v[6:7], -v[6:7], v[24:25], v[22:23]
	v_div_fmas_f64 v[6:7], v[6:7], v[8:9], v[24:25]
	v_div_fixup_f64 v[8:9], v[6:7], v[4:5], v[2:3]
	v_fmac_f64_e32 v[4:5], v[2:3], v[8:9]
	v_div_scale_f64 v[2:3], s[20:21], v[4:5], v[4:5], 1.0
	v_rcp_f64_e32 v[6:7], v[2:3]
	v_fma_f64 v[22:23], -v[2:3], v[6:7], 1.0
	v_fmac_f64_e32 v[6:7], v[6:7], v[22:23]
	v_fma_f64 v[22:23], -v[2:3], v[6:7], 1.0
	v_fmac_f64_e32 v[6:7], v[6:7], v[22:23]
	v_div_scale_f64 v[22:23], vcc, 1.0, v[4:5], 1.0
	v_mul_f64 v[24:25], v[22:23], v[6:7]
	v_fma_f64 v[2:3], -v[2:3], v[24:25], v[22:23]
	s_nop 1
	v_div_fmas_f64 v[2:3], v[2:3], v[6:7], v[24:25]
	v_div_fixup_f64 v[2:3], v[2:3], v[4:5], 1.0
	v_add_f64 v[4:5], v[8:9], 0
	v_mul_f64 v[6:7], v[4:5], v[2:3]
	v_fma_f64 v[4:5], v[8:9], 0, -1.0
	v_mul_f64 v[8:9], v[4:5], v[2:3]
                                        ; implicit-def: $vgpr2_vgpr3
	s_andn2_saveexec_b64 s[16:17], s[16:17]
	s_cbranch_execz .LBB8_209
.LBB8_212:                              ;   in Loop: Header=BB8_6 Depth=1
	v_div_scale_f64 v[6:7], s[20:21], v[2:3], v[2:3], v[4:5]
	v_rcp_f64_e32 v[8:9], v[6:7]
	v_div_scale_f64 v[22:23], vcc, v[4:5], v[2:3], v[4:5]
	v_fma_f64 v[24:25], -v[6:7], v[8:9], 1.0
	v_fmac_f64_e32 v[8:9], v[8:9], v[24:25]
	v_fma_f64 v[24:25], -v[6:7], v[8:9], 1.0
	v_fmac_f64_e32 v[8:9], v[8:9], v[24:25]
	v_mul_f64 v[24:25], v[22:23], v[8:9]
	v_fma_f64 v[6:7], -v[6:7], v[24:25], v[22:23]
	v_div_fmas_f64 v[6:7], v[6:7], v[8:9], v[24:25]
	v_div_fixup_f64 v[8:9], v[6:7], v[2:3], v[4:5]
	v_fmac_f64_e32 v[2:3], v[4:5], v[8:9]
	v_div_scale_f64 v[4:5], s[20:21], v[2:3], v[2:3], 1.0
	v_rcp_f64_e32 v[6:7], v[4:5]
	v_fma_f64 v[22:23], -v[4:5], v[6:7], 1.0
	v_fmac_f64_e32 v[6:7], v[6:7], v[22:23]
	v_fma_f64 v[22:23], -v[4:5], v[6:7], 1.0
	v_fmac_f64_e32 v[6:7], v[6:7], v[22:23]
	v_div_scale_f64 v[22:23], vcc, 1.0, v[2:3], 1.0
	v_mul_f64 v[24:25], v[22:23], v[6:7]
	v_fma_f64 v[4:5], -v[4:5], v[24:25], v[22:23]
	s_nop 1
	v_div_fmas_f64 v[4:5], v[4:5], v[6:7], v[24:25]
	v_div_fixup_f64 v[2:3], v[4:5], v[2:3], 1.0
	v_fma_f64 v[4:5], v[8:9], 0, 1.0
	v_mul_f64 v[6:7], v[4:5], v[2:3]
	v_add_f64 v[4:5], -v[8:9], 0
	v_mul_f64 v[8:9], v[4:5], v[2:3]
	s_or_b64 exec, exec, s[16:17]
	s_and_saveexec_b64 s[16:17], s[18:19]
	s_cbranch_execz .LBB8_210
.LBB8_213:                              ;   in Loop: Header=BB8_6 Depth=1
	global_load_dwordx4 v[2:5], v[18:19], off
	v_mul_lo_u32 v18, v12, s74
	v_ashrrev_i32_e32 v19, 31, v18
	v_lshlrev_b64 v[18:19], 4, v[18:19]
	v_mov_b32_e32 v21, s34
	v_add_co_u32_e32 v18, vcc, s33, v18
	v_addc_co_u32_e32 v19, vcc, v21, v19, vcc
	s_waitcnt vmcnt(0)
	global_store_dwordx4 v[18:19], v[2:5], off
	s_or_b64 exec, exec, s[16:17]
	s_and_saveexec_b64 s[16:17], s[12:13]
	s_cbranch_execz .LBB8_216
.LBB8_214:                              ;   in Loop: Header=BB8_6 Depth=1
	v_mad_u64_u32 v[2:3], s[12:13], s74, v12, 1
	v_add3_u32 v3, v20, v12, 1
	s_mov_b64 s[12:13], 0
	v_mov_b32_e32 v4, v10
.LBB8_215:                              ;   Parent Loop BB8_6 Depth=1
                                        ; =>  This Inner Loop Header: Depth=2
	v_add_u32_e32 v18, v3, v4
	v_ashrrev_i32_e32 v19, 31, v18
	v_lshlrev_b64 v[18:19], 4, v[18:19]
	v_mov_b32_e32 v5, s39
	v_add_co_u32_e32 v18, vcc, s38, v18
	v_addc_co_u32_e32 v19, vcc, v5, v19, vcc
	global_load_dwordx4 v[18:21], v[18:19], off
	v_add_u32_e32 v22, v2, v4
	v_add_u32_e32 v4, 0x100, v4
	v_ashrrev_i32_e32 v23, 31, v22
	v_cmp_ge_i32_e32 vcc, v4, v30
	v_lshlrev_b64 v[22:23], 4, v[22:23]
	v_mov_b32_e32 v5, s34
	s_or_b64 s[12:13], vcc, s[12:13]
	v_add_co_u32_e32 v24, vcc, s33, v22
	v_addc_co_u32_e32 v25, vcc, v5, v23, vcc
	s_waitcnt vmcnt(0)
	v_mul_f64 v[26:27], v[8:9], v[20:21]
	v_mul_f64 v[22:23], v[6:7], v[20:21]
	v_fma_f64 v[20:21], v[6:7], v[18:19], -v[26:27]
	v_fmac_f64_e32 v[22:23], v[8:9], v[18:19]
	global_store_dwordx4 v[24:25], v[20:23], off
	s_andn2_b64 exec, exec, s[12:13]
	s_cbranch_execnz .LBB8_215
.LBB8_216:                              ;   in Loop: Header=BB8_6 Depth=1
	s_or_b64 exec, exec, s[16:17]
	v_mov_b32_e32 v4, 1
	s_or_b64 s[6:7], s[6:7], exec
	s_barrier
.LBB8_217:                              ;   in Loop: Header=BB8_6 Depth=1
	s_or_b64 exec, exec, s[14:15]
	s_branch .LBB8_221
.LBB8_218:                              ;   in Loop: Header=BB8_6 Depth=1
	ds_read_b32 v2, v17 offset:3100
	s_waitcnt lgkmcnt(0)
	v_readfirstlane_b32 s6, v2
	s_cmp_eq_u32 s6, 0
	s_cselect_b64 s[6:7], -1, 0
	s_and_b64 s[12:13], s[18:19], s[6:7]
	s_and_saveexec_b64 s[6:7], s[12:13]
	s_cbranch_execz .LBB8_220
; %bb.219:                              ;   in Loop: Header=BB8_6 Depth=1
	ds_write_b32 v17, v47 offset:3100
.LBB8_220:                              ;   in Loop: Header=BB8_6 Depth=1
	s_or_b64 exec, exec, s[6:7]
	s_mov_b64 s[6:7], -1
	v_mov_b32_e32 v4, 1
	v_mov_b32_e32 v16, v12
.LBB8_221:                              ;   in Loop: Header=BB8_6 Depth=1
	s_and_saveexec_b64 s[12:13], s[18:19]
	s_cbranch_execz .LBB8_4
; %bb.222:                              ;   in Loop: Header=BB8_6 Depth=1
	v_lshlrev_b64 v[2:3], 2, v[12:13]
	v_mov_b32_e32 v5, s71
	v_add_co_u32_e32 v2, vcc, s70, v2
	s_xor_b64 s[6:7], s[6:7], -1
	v_addc_co_u32_e32 v3, vcc, v5, v3, vcc
	s_and_saveexec_b64 s[14:15], s[6:7]
	s_xor_b64 s[6:7], exec, s[14:15]
	s_cbranch_execz .LBB8_224
; %bb.223:                              ;   in Loop: Header=BB8_6 Depth=1
	v_not_b32_e32 v6, v16
	v_mov_b32_e32 v7, v6
	global_store_dwordx2 v[2:3], v[6:7], off
                                        ; implicit-def: $vgpr16
                                        ; implicit-def: $vgpr2_vgpr3
.LBB8_224:                              ;   in Loop: Header=BB8_6 Depth=1
	s_andn2_saveexec_b64 s[6:7], s[6:7]
	s_cbranch_execz .LBB8_4
; %bb.225:                              ;   in Loop: Header=BB8_6 Depth=1
	v_add_u32_e32 v5, 1, v16
	global_store_dword v[2:3], v5, off
	s_branch .LBB8_4
.LBB8_226:
	s_or_b64 exec, exec, s[54:55]
	s_and_saveexec_b64 s[6:7], s[18:19]
	s_cbranch_execz .LBB8_228
.LBB8_227:
	v_mov_b32_e32 v1, 0
	s_lshl_b64 s[8:9], s[44:45], 2
	ds_read_b32 v2, v1 offset:3100
	s_add_u32 s10, s28, s8
	s_addc_u32 s11, s29, s9
	s_add_u32 s8, s26, s8
	s_addc_u32 s9, s27, s9
	global_store_dword v1, v12, s[10:11]
	s_waitcnt lgkmcnt(0)
	global_store_dword v1, v2, s[8:9]
.LBB8_228:
	s_or_b64 exec, exec, s[6:7]
	v_cmp_gt_i32_e32 vcc, s36, v12
	s_and_saveexec_b64 s[10:11], vcc
	s_cbranch_execz .LBB8_249
; %bb.229:
	s_add_u32 s8, s46, s48
	v_ashrrev_i32_e32 v13, 31, v12
	s_addc_u32 s9, s47, s49
	v_lshlrev_b64 v[6:7], 4, v[12:13]
	v_mov_b32_e32 v1, s9
	v_add_co_u32_e32 v2, vcc, s8, v6
	v_addc_co_u32_e32 v1, vcc, v1, v7, vcc
	v_add_co_u32_e32 v2, vcc, v2, v15
	v_addc_co_u32_e32 v1, vcc, 0, v1, vcc
	s_ashr_i32 s9, s37, 31
	s_mov_b32 s8, s37
	v_mov_b32_e32 v4, s31
	v_add_co_u32_e32 v2, vcc, s30, v2
	s_lshl_b64 s[12:13], s[8:9], 4
	s_ashr_i32 s9, s35, 31
	s_mov_b32 s8, s35
	v_addc_co_u32_e32 v1, vcc, v1, v4, vcc
	s_lshl_b64 s[14:15], s[8:9], 4
	v_add_co_u32_e32 v4, vcc, 8, v2
	s_add_u32 s8, s40, s42
	v_addc_co_u32_e32 v5, vcc, 0, v1, vcc
	s_addc_u32 s9, s41, s43
	v_mov_b32_e32 v1, s9
	v_add_co_u32_e32 v2, vcc, s8, v6
	v_addc_co_u32_e32 v1, vcc, v1, v7, vcc
	s_ashr_i32 s9, s36, 31
	s_mov_b32 s8, s36
	v_add_co_u32_e32 v6, vcc, 8, v2
	s_lshl_b64 s[16:17], s[8:9], 4
	s_mov_b32 s20, 0
	v_cmp_ne_u32_e64 s[6:7], 0, v12
	v_mov_b32_e32 v3, 0
	v_addc_co_u32_e32 v7, vcc, 0, v1, vcc
	s_mov_b64 s[18:19], 0
	s_brev_b32 s21, 1
	v_mov_b32_e32 v1, s15
	v_mov_b32_e32 v13, s17
	;; [unrolled: 1-line block ×3, first 2 shown]
	s_branch .LBB8_231
.LBB8_230:                              ;   in Loop: Header=BB8_231 Depth=1
	s_or_b64 exec, exec, s[8:9]
	v_mov_b32_e32 v2, s13
	v_add_co_u32_e32 v4, vcc, s12, v4
	v_add_u32_e32 v8, s37, v8
	v_addc_co_u32_e32 v5, vcc, v5, v2, vcc
	v_cmp_le_i32_e32 vcc, s36, v8
	s_or_b64 s[18:19], vcc, s[18:19]
	v_add_co_u32_e32 v6, vcc, s12, v6
	v_addc_co_u32_e32 v7, vcc, v7, v2, vcc
	s_andn2_b64 exec, exec, s[18:19]
	s_cbranch_execz .LBB8_249
.LBB8_231:                              ; =>This Loop Header: Depth=1
                                        ;     Child Loop BB8_234 Depth 2
                                        ;       Child Loop BB8_237 Depth 3
                                        ;         Child Loop BB8_239 Depth 4
                                        ;     Child Loop BB8_245 Depth 2
                                        ;       Child Loop BB8_247 Depth 3
	v_sub_u32_e32 v9, s36, v8
	v_min_i32_e32 v15, s37, v9
	v_add_u32_e32 v14, v15, v8
	v_cmp_lt_i32_e32 vcc, 0, v15
	s_and_saveexec_b64 s[22:23], vcc
	s_cbranch_execz .LBB8_241
; %bb.232:                              ;   in Loop: Header=BB8_231 Depth=1
	s_mov_b64 s[24:25], 0
	v_pk_mov_b32 v[16:17], v[6:7], v[6:7] op_sel:[0,1]
	v_pk_mov_b32 v[18:19], v[4:5], v[4:5] op_sel:[0,1]
	v_mov_b32_e32 v20, v8
	s_branch .LBB8_234
.LBB8_233:                              ;   in Loop: Header=BB8_234 Depth=2
	s_or_b64 exec, exec, s[26:27]
	v_add_co_u32_e32 v18, vcc, 16, v18
	v_add_u32_e32 v20, 1, v20
	v_addc_co_u32_e32 v19, vcc, 0, v19, vcc
	v_cmp_ge_i32_e32 vcc, v20, v14
	s_or_b64 s[24:25], vcc, s[24:25]
	v_add_co_u32_e32 v16, vcc, 16, v16
	v_addc_co_u32_e32 v17, vcc, 0, v17, vcc
	s_andn2_b64 exec, exec, s[24:25]
	s_cbranch_execz .LBB8_241
.LBB8_234:                              ;   Parent Loop BB8_231 Depth=1
                                        ; =>  This Loop Header: Depth=2
                                        ;       Child Loop BB8_237 Depth 3
                                        ;         Child Loop BB8_239 Depth 4
	v_sub_u32_e32 v32, v14, v20
	v_cmp_gt_i32_e32 vcc, v32, v10
	s_and_saveexec_b64 s[26:27], vcc
	s_cbranch_execz .LBB8_233
; %bb.235:                              ;   in Loop: Header=BB8_234 Depth=2
	v_ashrrev_i32_e32 v21, 31, v20
	v_lshlrev_b64 v[22:23], 4, v[20:21]
	v_mov_b32_e32 v2, s34
	v_add_co_u32_e32 v21, vcc, s33, v22
	v_mul_lo_u32 v22, v20, s35
	v_addc_co_u32_e32 v2, vcc, v2, v23, vcc
	v_ashrrev_i32_e32 v23, 31, v22
	v_lshlrev_b64 v[22:23], 4, v[22:23]
	v_add_co_u32_e32 v21, vcc, v21, v22
	v_addc_co_u32_e32 v33, vcc, v2, v23, vcc
	s_mov_b64 s[28:29], 0
	v_pk_mov_b32 v[22:23], v[18:19], v[18:19] op_sel:[0,1]
	v_mov_b32_e32 v2, v10
	s_branch .LBB8_237
.LBB8_236:                              ;   in Loop: Header=BB8_237 Depth=3
	s_or_b64 exec, exec, s[8:9]
	v_lshlrev_b64 v[28:29], 4, v[2:3]
	v_add_co_u32_e32 v34, vcc, v21, v28
	v_addc_co_u32_e32 v35, vcc, v33, v29, vcc
	global_load_dwordx4 v[28:31], v[34:35], off
	v_fma_f64 v[36:37], v[24:25], s[20:21], -v[26:27]
	v_fma_f64 v[26:27], v[26:27], 0, -v[24:25]
	v_add_u32_e32 v2, 0x100, v2
	v_add_co_u32_e32 v22, vcc, 0x1000, v22
	v_cmp_ge_i32_e64 s[8:9], v2, v32
	s_or_b64 s[28:29], s[8:9], s[28:29]
	v_addc_co_u32_e32 v23, vcc, 0, v23, vcc
	s_waitcnt vmcnt(0)
	v_pk_mov_b32 v[24:25], v[28:29], v[28:29] op_sel:[0,1]
	v_fmac_f64_e32 v[24:25], 0x80000000, v[30:31]
	v_fmac_f64_e32 v[30:31], 0, v[28:29]
	v_add_f64 v[24:25], v[36:37], v[24:25]
	v_add_f64 v[26:27], v[26:27], v[30:31]
	global_store_dwordx4 v[34:35], v[24:27], off
	s_andn2_b64 exec, exec, s[28:29]
	s_cbranch_execz .LBB8_233
.LBB8_237:                              ;   Parent Loop BB8_231 Depth=1
                                        ;     Parent Loop BB8_234 Depth=2
                                        ; =>    This Loop Header: Depth=3
                                        ;         Child Loop BB8_239 Depth 4
	v_pk_mov_b32 v[24:25], 0, 0
	v_pk_mov_b32 v[26:27], v[24:25], v[24:25] op_sel:[0,1]
	s_and_saveexec_b64 s[8:9], s[6:7]
	s_cbranch_execz .LBB8_236
; %bb.238:                              ;   in Loop: Header=BB8_237 Depth=3
	v_pk_mov_b32 v[24:25], 0, 0
	s_mov_b64 s[30:31], 0
	v_pk_mov_b32 v[28:29], v[16:17], v[16:17] op_sel:[0,1]
	v_pk_mov_b32 v[30:31], v[22:23], v[22:23] op_sel:[0,1]
	v_mov_b32_e32 v34, v12
	v_pk_mov_b32 v[26:27], v[24:25], v[24:25] op_sel:[0,1]
.LBB8_239:                              ;   Parent Loop BB8_231 Depth=1
                                        ;     Parent Loop BB8_234 Depth=2
                                        ;       Parent Loop BB8_237 Depth=3
                                        ; =>      This Inner Loop Header: Depth=4
	global_load_dwordx4 v[36:39], v[28:29], off offset:-8
	global_load_dwordx4 v[40:43], v[30:31], off offset:-8
	v_add_co_u32_e32 v30, vcc, s14, v30
	v_addc_co_u32_e32 v31, vcc, v31, v1, vcc
	v_add_co_u32_e32 v28, vcc, s16, v28
	v_add_u32_e32 v34, -1, v34
	v_addc_co_u32_e32 v29, vcc, v29, v13, vcc
	v_cmp_eq_u32_e32 vcc, 0, v34
	s_or_b64 s[30:31], vcc, s[30:31]
	s_waitcnt vmcnt(0)
	v_mul_f64 v[44:45], v[38:39], v[42:43]
	v_mul_f64 v[42:43], v[36:37], v[42:43]
	v_fma_f64 v[36:37], v[36:37], v[40:41], -v[44:45]
	v_fmac_f64_e32 v[42:43], v[38:39], v[40:41]
	v_add_f64 v[26:27], v[26:27], v[36:37]
	v_add_f64 v[24:25], v[24:25], v[42:43]
	s_andn2_b64 exec, exec, s[30:31]
	s_cbranch_execnz .LBB8_239
; %bb.240:                              ;   in Loop: Header=BB8_237 Depth=3
	s_or_b64 exec, exec, s[30:31]
	s_branch .LBB8_236
.LBB8_241:                              ;   in Loop: Header=BB8_231 Depth=1
	s_or_b64 exec, exec, s[22:23]
	v_cmp_gt_i32_e32 vcc, s36, v14
	s_and_saveexec_b64 s[8:9], vcc
	s_cbranch_execz .LBB8_230
; %bb.242:                              ;   in Loop: Header=BB8_231 Depth=1
	v_sub_u32_e32 v17, v9, v15
	v_mul_lo_u32 v24, v17, v15
	v_cmp_gt_i32_e32 vcc, v24, v10
	s_and_b64 exec, exec, vcc
	s_cbranch_execz .LBB8_230
; %bb.243:                              ;   in Loop: Header=BB8_231 Depth=1
	v_ashrrev_i32_e32 v15, 31, v14
	v_lshlrev_b64 v[14:15], 4, v[14:15]
	v_mov_b32_e32 v2, s34
	v_add_co_u32_e32 v25, vcc, s33, v14
	v_ashrrev_i32_e32 v9, 31, v8
	v_addc_co_u32_e32 v26, vcc, v2, v15, vcc
	v_lshlrev_b64 v[14:15], 4, v[8:9]
	v_sub_u32_e32 v9, 0, v17
	v_max_i32_e32 v9, v17, v9
	v_cvt_f32_u32_e32 v16, v9
	v_mov_b32_e32 v2, s39
	v_add_co_u32_e32 v27, vcc, s38, v14
	v_addc_co_u32_e32 v28, vcc, v2, v15, vcc
	v_rcp_iflag_f32_e32 v2, v16
	v_mul_lo_u32 v14, v8, s35
	v_ashrrev_i32_e32 v15, 31, v14
	v_lshlrev_b64 v[14:15], 4, v[14:15]
	v_mul_f32_e32 v2, 0x4f7ffffe, v2
	v_cvt_u32_f32_e32 v2, v2
	v_add_co_u32_e32 v29, vcc, v25, v14
	v_sub_u32_e32 v14, 0, v9
	v_mul_lo_u32 v14, v14, v2
	v_mul_hi_u32 v14, v2, v14
	v_addc_co_u32_e32 v30, vcc, v26, v15, vcc
	v_ashrrev_i32_e32 v31, 31, v17
	v_add_u32_e32 v2, v2, v14
	s_mov_b64 s[22:23], 0
	v_mov_b32_e32 v32, v10
	s_branch .LBB8_245
.LBB8_244:                              ;   in Loop: Header=BB8_245 Depth=2
	s_or_b64 exec, exec, s[24:25]
	v_mad_u64_u32 v[20:21], s[24:25], v33, s35, v[16:17]
	v_ashrrev_i32_e32 v21, 31, v20
	v_lshlrev_b64 v[20:21], 4, v[20:21]
	v_add_co_u32_e32 v34, vcc, v29, v20
	v_addc_co_u32_e32 v35, vcc, v30, v21, vcc
	global_load_dwordx4 v[20:23], v[34:35], off
	v_fma_f64 v[36:37], v[14:15], s[20:21], -v[18:19]
	v_fma_f64 v[14:15], v[18:19], 0, -v[14:15]
	v_add_u32_e32 v32, 0x100, v32
	v_cmp_ge_i32_e32 vcc, v32, v24
	s_or_b64 s[22:23], vcc, s[22:23]
	s_waitcnt vmcnt(0)
	v_pk_mov_b32 v[18:19], v[20:21], v[20:21] op_sel:[0,1]
	v_fmac_f64_e32 v[18:19], 0x80000000, v[22:23]
	v_fmac_f64_e32 v[22:23], 0, v[20:21]
	v_add_f64 v[18:19], v[36:37], v[18:19]
	v_add_f64 v[20:21], v[14:15], v[22:23]
	global_store_dwordx4 v[34:35], v[18:21], off
	s_andn2_b64 exec, exec, s[22:23]
	s_cbranch_execz .LBB8_230
.LBB8_245:                              ;   Parent Loop BB8_231 Depth=1
                                        ; =>  This Loop Header: Depth=2
                                        ;       Child Loop BB8_247 Depth 3
	v_mul_hi_u32 v14, v32, v2
	v_mul_lo_u32 v15, v14, v9
	v_sub_u32_e32 v15, v32, v15
	v_add_u32_e32 v16, 1, v14
	v_cmp_ge_u32_e32 vcc, v15, v9
	v_cndmask_b32_e32 v14, v14, v16, vcc
	v_sub_u32_e32 v16, v15, v9
	v_cndmask_b32_e32 v15, v15, v16, vcc
	v_add_u32_e32 v16, 1, v14
	v_cmp_ge_u32_e32 vcc, v15, v9
	v_cndmask_b32_e32 v14, v14, v16, vcc
	v_xor_b32_e32 v14, v14, v31
	v_sub_u32_e32 v33, v14, v31
	v_mul_lo_u32 v14, v33, v17
	v_sub_u32_e32 v16, v32, v14
	v_pk_mov_b32 v[14:15], 0, 0
	v_pk_mov_b32 v[18:19], v[14:15], v[14:15] op_sel:[0,1]
	s_and_saveexec_b64 s[24:25], s[6:7]
	s_cbranch_execz .LBB8_244
; %bb.246:                              ;   in Loop: Header=BB8_245 Depth=2
	v_pk_mov_b32 v[14:15], 0, 0
	s_mov_b64 s[26:27], 0
	v_mov_b32_e32 v20, v16
	v_mov_b32_e32 v22, v33
	;; [unrolled: 1-line block ×3, first 2 shown]
	v_pk_mov_b32 v[18:19], v[14:15], v[14:15] op_sel:[0,1]
.LBB8_247:                              ;   Parent Loop BB8_231 Depth=1
                                        ;     Parent Loop BB8_245 Depth=2
                                        ; =>    This Inner Loop Header: Depth=3
	v_ashrrev_i32_e32 v21, 31, v20
	v_lshlrev_b64 v[36:37], 4, v[20:21]
	v_add_co_u32_e32 v44, vcc, v25, v36
	v_ashrrev_i32_e32 v23, 31, v22
	v_addc_co_u32_e32 v45, vcc, v26, v37, vcc
	v_lshlrev_b64 v[36:37], 4, v[22:23]
	v_add_co_u32_e32 v46, vcc, v27, v36
	v_addc_co_u32_e32 v47, vcc, v28, v37, vcc
	global_load_dwordx4 v[36:39], v[46:47], off
	global_load_dwordx4 v[40:43], v[44:45], off
	v_add_u32_e32 v34, -1, v34
	v_cmp_eq_u32_e32 vcc, 0, v34
	v_add_u32_e32 v22, s36, v22
	s_or_b64 s[26:27], vcc, s[26:27]
	v_add_u32_e32 v20, s35, v20
	s_waitcnt vmcnt(0)
	v_mul_f64 v[44:45], v[38:39], v[42:43]
	v_mul_f64 v[42:43], v[36:37], v[42:43]
	v_fma_f64 v[36:37], v[36:37], v[40:41], -v[44:45]
	v_fmac_f64_e32 v[42:43], v[38:39], v[40:41]
	v_add_f64 v[18:19], v[18:19], v[36:37]
	v_add_f64 v[14:15], v[14:15], v[42:43]
	s_andn2_b64 exec, exec, s[26:27]
	s_cbranch_execnz .LBB8_247
; %bb.248:                              ;   in Loop: Header=BB8_245 Depth=2
	s_or_b64 exec, exec, s[26:27]
	s_branch .LBB8_244
.LBB8_249:
	s_or_b64 exec, exec, s[10:11]
	v_cmp_lt_i32_e32 vcc, 1, v12
	s_waitcnt lgkmcnt(0)
	s_barrier
	s_and_saveexec_b64 s[6:7], vcc
	s_cbranch_execz .LBB8_257
; %bb.250:
	s_load_dwordx2 s[4:5], s[4:5], 0x4
	v_bfe_u32 v1, v0, 10, 10
	v_bfe_u32 v0, v0, 20, 10
	v_mov_b32_e32 v2, 0xc20
	s_mov_b64 s[6:7], 0
	s_waitcnt lgkmcnt(0)
	s_lshr_b32 s4, s4, 16
	s_mul_i32 s4, s4, s5
	v_mul_u32_u24_e32 v1, s5, v1
	v_mul_lo_u32 v3, s4, v10
	v_add3_u32 v0, v3, v1, v0
	s_add_u32 s10, s33, -16
	v_lshl_add_u32 v2, v0, 4, v2
	s_addc_u32 s11, s34, -1
	s_lshl_b32 s12, s35, 8
	v_mov_b32_e32 v1, 0
	v_mov_b32_e32 v4, s71
	s_branch .LBB8_253
.LBB8_251:                              ;   in Loop: Header=BB8_253 Depth=1
	s_waitcnt lgkmcnt(0)
	s_barrier
.LBB8_252:                              ;   in Loop: Header=BB8_253 Depth=1
	s_or_b64 exec, exec, s[4:5]
	v_cmp_gt_i32_e32 vcc, 2, v5
	s_or_b64 s[6:7], vcc, s[6:7]
	v_mov_b32_e32 v12, v5
	s_andn2_b64 exec, exec, s[6:7]
	s_cbranch_execz .LBB8_257
.LBB8_253:                              ; =>This Loop Header: Depth=1
                                        ;     Child Loop BB8_256 Depth 2
	v_add_u32_e32 v0, -1, v12
	v_lshlrev_b64 v[6:7], 2, v[0:1]
	v_add_co_u32_e32 v6, vcc, s70, v6
	v_addc_co_u32_e32 v7, vcc, v4, v7, vcc
	global_load_dword v3, v[6:7], off
	v_add_u32_e32 v5, -2, v12
	s_waitcnt vmcnt(0)
	v_not_b32_e32 v6, v3
	v_add_u32_e32 v7, -1, v3
	v_cmp_gt_i32_e32 vcc, 0, v3
	v_cndmask_b32_e32 v6, v7, v6, vcc
	v_cndmask_b32_e32 v5, v0, v5, vcc
	v_cmp_ne_u32_e32 vcc, v6, v0
	v_cmp_ne_u32_e64 s[4:5], 0, v5
	s_and_b64 s[8:9], vcc, s[4:5]
	s_and_saveexec_b64 s[4:5], s[8:9]
	s_cbranch_execz .LBB8_252
; %bb.254:                              ;   in Loop: Header=BB8_253 Depth=1
	v_cmp_gt_i32_e32 vcc, v5, v10
	s_and_b64 exec, exec, vcc
	s_cbranch_execz .LBB8_251
; %bb.255:                              ;   in Loop: Header=BB8_253 Depth=1
	v_ashrrev_i32_e32 v3, 31, v12
	s_mov_b64 s[8:9], 0
	v_mov_b32_e32 v0, v11
	v_mov_b32_e32 v7, v10
.LBB8_256:                              ;   Parent Loop BB8_253 Depth=1
                                        ; =>  This Inner Loop Header: Depth=2
	v_add_u32_e32 v8, v6, v0
	v_ashrrev_i32_e32 v15, 31, v0
	v_add_co_u32_e32 v14, vcc, v0, v12
	v_ashrrev_i32_e32 v9, 31, v8
	v_addc_co_u32_e32 v15, vcc, v15, v3, vcc
	v_lshlrev_b64 v[8:9], 4, v[8:9]
	v_mov_b32_e32 v13, s34
	v_add_co_u32_e32 v8, vcc, s33, v8
	v_lshlrev_b64 v[14:15], 4, v[14:15]
	v_addc_co_u32_e32 v9, vcc, v13, v9, vcc
	v_mov_b32_e32 v16, s11
	v_add_co_u32_e32 v22, vcc, s10, v14
	v_addc_co_u32_e32 v23, vcc, v16, v15, vcc
	global_load_dwordx4 v[14:17], v[8:9], off
	global_load_dwordx4 v[18:21], v[22:23], off
	v_add_u32_e32 v7, 0x100, v7
	v_cmp_ge_i32_e32 vcc, v7, v5
	v_add_u32_e32 v0, s12, v0
	s_or_b64 s[8:9], vcc, s[8:9]
	s_waitcnt vmcnt(1)
	ds_write2_b64 v2, v[14:15], v[16:17] offset1:1
	s_waitcnt vmcnt(0)
	global_store_dwordx4 v[8:9], v[18:21], off
	global_store_dwordx4 v[22:23], v[14:17], off
	s_andn2_b64 exec, exec, s[8:9]
	s_cbranch_execnz .LBB8_256
	s_branch .LBB8_251
.LBB8_257:
	s_endpgm
.LBB8_258:
	v_mov_b32_e32 v12, 0
	s_and_saveexec_b64 s[6:7], s[18:19]
	s_cbranch_execnz .LBB8_227
	s_branch .LBB8_228
	.section	.rodata,"a",@progbits
	.p2align	6, 0x0
	.amdhsa_kernel _ZN9rocsolver6v33100L18lasyf_kernel_lowerI19rocblas_complex_numIdEPS3_EEviiPiT0_iilS5_lS5_PT_
		.amdhsa_group_segment_fixed_size 7200
		.amdhsa_private_segment_fixed_size 40
		.amdhsa_kernarg_size 72
		.amdhsa_user_sgpr_count 10
		.amdhsa_user_sgpr_private_segment_buffer 1
		.amdhsa_user_sgpr_dispatch_ptr 1
		.amdhsa_user_sgpr_queue_ptr 0
		.amdhsa_user_sgpr_kernarg_segment_ptr 1
		.amdhsa_user_sgpr_dispatch_id 0
		.amdhsa_user_sgpr_flat_scratch_init 1
		.amdhsa_user_sgpr_kernarg_preload_length 0
		.amdhsa_user_sgpr_kernarg_preload_offset 0
		.amdhsa_user_sgpr_private_segment_size 0
		.amdhsa_uses_dynamic_stack 0
		.amdhsa_system_sgpr_private_segment_wavefront_offset 1
		.amdhsa_system_sgpr_workgroup_id_x 1
		.amdhsa_system_sgpr_workgroup_id_y 1
		.amdhsa_system_sgpr_workgroup_id_z 0
		.amdhsa_system_sgpr_workgroup_info 0
		.amdhsa_system_vgpr_workitem_id 2
		.amdhsa_next_free_vgpr 62
		.amdhsa_next_free_sgpr 90
		.amdhsa_accum_offset 64
		.amdhsa_reserve_vcc 1
		.amdhsa_reserve_flat_scratch 0
		.amdhsa_float_round_mode_32 0
		.amdhsa_float_round_mode_16_64 0
		.amdhsa_float_denorm_mode_32 3
		.amdhsa_float_denorm_mode_16_64 3
		.amdhsa_dx10_clamp 1
		.amdhsa_ieee_mode 1
		.amdhsa_fp16_overflow 0
		.amdhsa_tg_split 0
		.amdhsa_exception_fp_ieee_invalid_op 0
		.amdhsa_exception_fp_denorm_src 0
		.amdhsa_exception_fp_ieee_div_zero 0
		.amdhsa_exception_fp_ieee_overflow 0
		.amdhsa_exception_fp_ieee_underflow 0
		.amdhsa_exception_fp_ieee_inexact 0
		.amdhsa_exception_int_div_zero 0
	.end_amdhsa_kernel
	.section	.text._ZN9rocsolver6v33100L18lasyf_kernel_lowerI19rocblas_complex_numIdEPS3_EEviiPiT0_iilS5_lS5_PT_,"axG",@progbits,_ZN9rocsolver6v33100L18lasyf_kernel_lowerI19rocblas_complex_numIdEPS3_EEviiPiT0_iilS5_lS5_PT_,comdat
.Lfunc_end8:
	.size	_ZN9rocsolver6v33100L18lasyf_kernel_lowerI19rocblas_complex_numIdEPS3_EEviiPiT0_iilS5_lS5_PT_, .Lfunc_end8-_ZN9rocsolver6v33100L18lasyf_kernel_lowerI19rocblas_complex_numIdEPS3_EEviiPiT0_iilS5_lS5_PT_
                                        ; -- End function
	.section	.AMDGPU.csdata,"",@progbits
; Kernel info:
; codeLenInByte = 12096
; NumSgprs: 94
; NumVgprs: 62
; NumAgprs: 0
; TotalNumVgprs: 62
; ScratchSize: 40
; MemoryBound: 0
; FloatMode: 240
; IeeeMode: 1
; LDSByteSize: 7200 bytes/workgroup (compile time only)
; SGPRBlocks: 11
; VGPRBlocks: 7
; NumSGPRsForWavesPerEU: 94
; NumVGPRsForWavesPerEU: 62
; AccumOffset: 64
; Occupancy: 8
; WaveLimiterHint : 1
; COMPUTE_PGM_RSRC2:SCRATCH_EN: 1
; COMPUTE_PGM_RSRC2:USER_SGPR: 10
; COMPUTE_PGM_RSRC2:TRAP_HANDLER: 0
; COMPUTE_PGM_RSRC2:TGID_X_EN: 1
; COMPUTE_PGM_RSRC2:TGID_Y_EN: 1
; COMPUTE_PGM_RSRC2:TGID_Z_EN: 0
; COMPUTE_PGM_RSRC2:TIDIG_COMP_CNT: 2
; COMPUTE_PGM_RSRC3_GFX90A:ACCUM_OFFSET: 15
; COMPUTE_PGM_RSRC3_GFX90A:TG_SPLIT: 0
	.text
	.p2alignl 6, 3212836864
	.fill 256, 4, 3212836864
	.type	__hip_cuid_76a33ab11c6a3d5c,@object ; @__hip_cuid_76a33ab11c6a3d5c
	.section	.bss,"aw",@nobits
	.globl	__hip_cuid_76a33ab11c6a3d5c
__hip_cuid_76a33ab11c6a3d5c:
	.byte	0                               ; 0x0
	.size	__hip_cuid_76a33ab11c6a3d5c, 1

	.ident	"AMD clang version 19.0.0git (https://github.com/RadeonOpenCompute/llvm-project roc-6.4.0 25133 c7fe45cf4b819c5991fe208aaa96edf142730f1d)"
	.section	".note.GNU-stack","",@progbits
	.addrsig
	.addrsig_sym __hip_cuid_76a33ab11c6a3d5c
	.amdgpu_metadata
---
amdhsa.kernels:
  - .agpr_count:     0
    .args:
      - .address_space:  global
        .offset:         0
        .size:           8
        .value_kind:     global_buffer
      - .offset:         8
        .size:           4
        .value_kind:     by_value
      - .offset:         12
        .size:           4
        .value_kind:     by_value
      - .offset:         16
        .size:           4
        .value_kind:     by_value
      - .offset:         24
        .size:           4
        .value_kind:     hidden_block_count_x
      - .offset:         28
        .size:           4
        .value_kind:     hidden_block_count_y
      - .offset:         32
        .size:           4
        .value_kind:     hidden_block_count_z
      - .offset:         36
        .size:           2
        .value_kind:     hidden_group_size_x
      - .offset:         38
        .size:           2
        .value_kind:     hidden_group_size_y
      - .offset:         40
        .size:           2
        .value_kind:     hidden_group_size_z
      - .offset:         42
        .size:           2
        .value_kind:     hidden_remainder_x
      - .offset:         44
        .size:           2
        .value_kind:     hidden_remainder_y
      - .offset:         46
        .size:           2
        .value_kind:     hidden_remainder_z
      - .offset:         64
        .size:           8
        .value_kind:     hidden_global_offset_x
      - .offset:         72
        .size:           8
        .value_kind:     hidden_global_offset_y
      - .offset:         80
        .size:           8
        .value_kind:     hidden_global_offset_z
      - .offset:         88
        .size:           2
        .value_kind:     hidden_grid_dims
    .group_segment_fixed_size: 0
    .kernarg_segment_align: 8
    .kernarg_segment_size: 280
    .language:       OpenCL C
    .language_version:
      - 2
      - 0
    .max_flat_workgroup_size: 1024
    .name:           _ZN9rocsolver6v33100L10reset_infoIiiiEEvPT_T0_T1_S4_
    .private_segment_fixed_size: 0
    .sgpr_count:     12
    .sgpr_spill_count: 0
    .symbol:         _ZN9rocsolver6v33100L10reset_infoIiiiEEvPT_T0_T1_S4_.kd
    .uniform_work_group_size: 1
    .uses_dynamic_stack: false
    .vgpr_count:     4
    .vgpr_spill_count: 0
    .wavefront_size: 64
  - .agpr_count:     0
    .args:
      - .offset:         0
        .size:           4
        .value_kind:     by_value
      - .offset:         4
        .size:           4
        .value_kind:     by_value
      - .address_space:  global
        .offset:         8
        .size:           8
        .value_kind:     global_buffer
      - .address_space:  global
        .offset:         16
        .size:           8
        .value_kind:     global_buffer
      - .offset:         24
        .size:           4
        .value_kind:     by_value
      - .offset:         28
        .size:           4
        .value_kind:     by_value
      - .offset:         32
        .size:           8
        .value_kind:     by_value
      - .address_space:  global
        .offset:         40
        .size:           8
        .value_kind:     global_buffer
      - .offset:         48
        .size:           8
        .value_kind:     by_value
      - .address_space:  global
        .offset:         56
        .size:           8
        .value_kind:     global_buffer
      - .address_space:  global
        .offset:         64
        .size:           8
        .value_kind:     global_buffer
    .group_segment_fixed_size: 2068
    .kernarg_segment_align: 8
    .kernarg_segment_size: 72
    .language:       OpenCL C
    .language_version:
      - 2
      - 0
    .max_flat_workgroup_size: 256
    .name:           _ZN9rocsolver6v33100L18lasyf_kernel_upperIfPfEEviiPiT0_iilS3_lS3_PT_
    .private_segment_fixed_size: 0
    .sgpr_count:     85
    .sgpr_spill_count: 0
    .symbol:         _ZN9rocsolver6v33100L18lasyf_kernel_upperIfPfEEviiPiT0_iilS3_lS3_PT_.kd
    .uniform_work_group_size: 1
    .uses_dynamic_stack: false
    .vgpr_count:     35
    .vgpr_spill_count: 0
    .wavefront_size: 64
  - .agpr_count:     0
    .args:
      - .offset:         0
        .size:           4
        .value_kind:     by_value
      - .offset:         4
        .size:           4
        .value_kind:     by_value
      - .address_space:  global
        .offset:         8
        .size:           8
        .value_kind:     global_buffer
      - .address_space:  global
        .offset:         16
        .size:           8
        .value_kind:     global_buffer
      - .offset:         24
        .size:           4
        .value_kind:     by_value
      - .offset:         28
        .size:           4
        .value_kind:     by_value
      - .offset:         32
        .size:           8
        .value_kind:     by_value
      - .address_space:  global
        .offset:         40
        .size:           8
        .value_kind:     global_buffer
      - .offset:         48
        .size:           8
        .value_kind:     by_value
      - .address_space:  global
        .offset:         56
        .size:           8
        .value_kind:     global_buffer
      - .address_space:  global
        .offset:         64
        .size:           8
        .value_kind:     global_buffer
    .group_segment_fixed_size: 2068
    .kernarg_segment_align: 8
    .kernarg_segment_size: 72
    .language:       OpenCL C
    .language_version:
      - 2
      - 0
    .max_flat_workgroup_size: 256
    .name:           _ZN9rocsolver6v33100L18lasyf_kernel_lowerIfPfEEviiPiT0_iilS3_lS3_PT_
    .private_segment_fixed_size: 0
    .sgpr_count:     80
    .sgpr_spill_count: 0
    .symbol:         _ZN9rocsolver6v33100L18lasyf_kernel_lowerIfPfEEviiPiT0_iilS3_lS3_PT_.kd
    .uniform_work_group_size: 1
    .uses_dynamic_stack: false
    .vgpr_count:     48
    .vgpr_spill_count: 0
    .wavefront_size: 64
  - .agpr_count:     0
    .args:
      - .offset:         0
        .size:           4
        .value_kind:     by_value
      - .offset:         4
        .size:           4
        .value_kind:     by_value
      - .address_space:  global
        .offset:         8
        .size:           8
        .value_kind:     global_buffer
      - .address_space:  global
        .offset:         16
        .size:           8
        .value_kind:     global_buffer
      - .offset:         24
        .size:           4
        .value_kind:     by_value
      - .offset:         28
        .size:           4
        .value_kind:     by_value
      - .offset:         32
        .size:           8
        .value_kind:     by_value
      - .address_space:  global
        .offset:         40
        .size:           8
        .value_kind:     global_buffer
      - .offset:         48
        .size:           8
        .value_kind:     by_value
      - .address_space:  global
        .offset:         56
        .size:           8
        .value_kind:     global_buffer
      - .address_space:  global
        .offset:         64
        .size:           8
        .value_kind:     global_buffer
    .group_segment_fixed_size: 3104
    .kernarg_segment_align: 8
    .kernarg_segment_size: 72
    .language:       OpenCL C
    .language_version:
      - 2
      - 0
    .max_flat_workgroup_size: 256
    .name:           _ZN9rocsolver6v33100L18lasyf_kernel_upperIdPdEEviiPiT0_iilS3_lS3_PT_
    .private_segment_fixed_size: 0
    .sgpr_count:     87
    .sgpr_spill_count: 0
    .symbol:         _ZN9rocsolver6v33100L18lasyf_kernel_upperIdPdEEviiPiT0_iilS3_lS3_PT_.kd
    .uniform_work_group_size: 1
    .uses_dynamic_stack: false
    .vgpr_count:     45
    .vgpr_spill_count: 0
    .wavefront_size: 64
  - .agpr_count:     0
    .args:
      - .offset:         0
        .size:           4
        .value_kind:     by_value
      - .offset:         4
        .size:           4
        .value_kind:     by_value
      - .address_space:  global
        .offset:         8
        .size:           8
        .value_kind:     global_buffer
      - .address_space:  global
        .offset:         16
        .size:           8
        .value_kind:     global_buffer
      - .offset:         24
        .size:           4
        .value_kind:     by_value
      - .offset:         28
        .size:           4
        .value_kind:     by_value
      - .offset:         32
        .size:           8
        .value_kind:     by_value
      - .address_space:  global
        .offset:         40
        .size:           8
        .value_kind:     global_buffer
      - .offset:         48
        .size:           8
        .value_kind:     by_value
      - .address_space:  global
        .offset:         56
        .size:           8
        .value_kind:     global_buffer
      - .address_space:  global
        .offset:         64
        .size:           8
        .value_kind:     global_buffer
    .group_segment_fixed_size: 3104
    .kernarg_segment_align: 8
    .kernarg_segment_size: 72
    .language:       OpenCL C
    .language_version:
      - 2
      - 0
    .max_flat_workgroup_size: 256
    .name:           _ZN9rocsolver6v33100L18lasyf_kernel_lowerIdPdEEviiPiT0_iilS3_lS3_PT_
    .private_segment_fixed_size: 0
    .sgpr_count:     82
    .sgpr_spill_count: 0
    .symbol:         _ZN9rocsolver6v33100L18lasyf_kernel_lowerIdPdEEviiPiT0_iilS3_lS3_PT_.kd
    .uniform_work_group_size: 1
    .uses_dynamic_stack: false
    .vgpr_count:     61
    .vgpr_spill_count: 0
    .wavefront_size: 64
  - .agpr_count:     0
    .args:
      - .offset:         0
        .size:           4
        .value_kind:     by_value
      - .offset:         4
        .size:           4
        .value_kind:     by_value
      - .address_space:  global
        .offset:         8
        .size:           8
        .value_kind:     global_buffer
      - .address_space:  global
        .offset:         16
        .size:           8
        .value_kind:     global_buffer
      - .offset:         24
        .size:           4
        .value_kind:     by_value
      - .offset:         28
        .size:           4
        .value_kind:     by_value
      - .offset:         32
        .size:           8
        .value_kind:     by_value
      - .address_space:  global
        .offset:         40
        .size:           8
        .value_kind:     global_buffer
      - .offset:         48
        .size:           8
        .value_kind:     by_value
      - .address_space:  global
        .offset:         56
        .size:           8
        .value_kind:     global_buffer
      - .address_space:  global
        .offset:         64
        .size:           8
        .value_kind:     global_buffer
    .group_segment_fixed_size: 2068
    .kernarg_segment_align: 8
    .kernarg_segment_size: 72
    .language:       OpenCL C
    .language_version:
      - 2
      - 0
    .max_flat_workgroup_size: 256
    .name:           _ZN9rocsolver6v33100L18lasyf_kernel_upperI19rocblas_complex_numIfEPS3_EEviiPiT0_iilS5_lS5_PT_
    .private_segment_fixed_size: 0
    .sgpr_count:     92
    .sgpr_spill_count: 0
    .symbol:         _ZN9rocsolver6v33100L18lasyf_kernel_upperI19rocblas_complex_numIfEPS3_EEviiPiT0_iilS5_lS5_PT_.kd
    .uniform_work_group_size: 1
    .uses_dynamic_stack: false
    .vgpr_count:     38
    .vgpr_spill_count: 0
    .wavefront_size: 64
  - .agpr_count:     0
    .args:
      - .offset:         0
        .size:           4
        .value_kind:     by_value
      - .offset:         4
        .size:           4
        .value_kind:     by_value
      - .address_space:  global
        .offset:         8
        .size:           8
        .value_kind:     global_buffer
      - .address_space:  global
        .offset:         16
        .size:           8
        .value_kind:     global_buffer
      - .offset:         24
        .size:           4
        .value_kind:     by_value
      - .offset:         28
        .size:           4
        .value_kind:     by_value
      - .offset:         32
        .size:           8
        .value_kind:     by_value
      - .address_space:  global
        .offset:         40
        .size:           8
        .value_kind:     global_buffer
      - .offset:         48
        .size:           8
        .value_kind:     by_value
      - .address_space:  global
        .offset:         56
        .size:           8
        .value_kind:     global_buffer
      - .address_space:  global
        .offset:         64
        .size:           8
        .value_kind:     global_buffer
    .group_segment_fixed_size: 2068
    .kernarg_segment_align: 8
    .kernarg_segment_size: 72
    .language:       OpenCL C
    .language_version:
      - 2
      - 0
    .max_flat_workgroup_size: 256
    .name:           _ZN9rocsolver6v33100L18lasyf_kernel_lowerI19rocblas_complex_numIfEPS3_EEviiPiT0_iilS5_lS5_PT_
    .private_segment_fixed_size: 0
    .sgpr_count:     88
    .sgpr_spill_count: 0
    .symbol:         _ZN9rocsolver6v33100L18lasyf_kernel_lowerI19rocblas_complex_numIfEPS3_EEviiPiT0_iilS5_lS5_PT_.kd
    .uniform_work_group_size: 1
    .uses_dynamic_stack: false
    .vgpr_count:     52
    .vgpr_spill_count: 0
    .wavefront_size: 64
  - .agpr_count:     0
    .args:
      - .offset:         0
        .size:           4
        .value_kind:     by_value
      - .offset:         4
        .size:           4
        .value_kind:     by_value
      - .address_space:  global
        .offset:         8
        .size:           8
        .value_kind:     global_buffer
      - .address_space:  global
        .offset:         16
        .size:           8
        .value_kind:     global_buffer
      - .offset:         24
        .size:           4
        .value_kind:     by_value
      - .offset:         28
        .size:           4
        .value_kind:     by_value
      - .offset:         32
        .size:           8
        .value_kind:     by_value
      - .address_space:  global
        .offset:         40
        .size:           8
        .value_kind:     global_buffer
      - .offset:         48
        .size:           8
        .value_kind:     by_value
      - .address_space:  global
        .offset:         56
        .size:           8
        .value_kind:     global_buffer
      - .address_space:  global
        .offset:         64
        .size:           8
        .value_kind:     global_buffer
    .group_segment_fixed_size: 7200
    .kernarg_segment_align: 8
    .kernarg_segment_size: 72
    .language:       OpenCL C
    .language_version:
      - 2
      - 0
    .max_flat_workgroup_size: 256
    .name:           _ZN9rocsolver6v33100L18lasyf_kernel_upperI19rocblas_complex_numIdEPS3_EEviiPiT0_iilS5_lS5_PT_
    .private_segment_fixed_size: 40
    .sgpr_count:     100
    .sgpr_spill_count: 0
    .symbol:         _ZN9rocsolver6v33100L18lasyf_kernel_upperI19rocblas_complex_numIdEPS3_EEviiPiT0_iilS5_lS5_PT_.kd
    .uniform_work_group_size: 1
    .uses_dynamic_stack: false
    .vgpr_count:     48
    .vgpr_spill_count: 0
    .wavefront_size: 64
  - .agpr_count:     0
    .args:
      - .offset:         0
        .size:           4
        .value_kind:     by_value
      - .offset:         4
        .size:           4
        .value_kind:     by_value
      - .address_space:  global
        .offset:         8
        .size:           8
        .value_kind:     global_buffer
      - .address_space:  global
        .offset:         16
        .size:           8
        .value_kind:     global_buffer
      - .offset:         24
        .size:           4
        .value_kind:     by_value
      - .offset:         28
        .size:           4
        .value_kind:     by_value
      - .offset:         32
        .size:           8
        .value_kind:     by_value
      - .address_space:  global
        .offset:         40
        .size:           8
        .value_kind:     global_buffer
      - .offset:         48
        .size:           8
        .value_kind:     by_value
      - .address_space:  global
        .offset:         56
        .size:           8
        .value_kind:     global_buffer
      - .address_space:  global
        .offset:         64
        .size:           8
        .value_kind:     global_buffer
    .group_segment_fixed_size: 7200
    .kernarg_segment_align: 8
    .kernarg_segment_size: 72
    .language:       OpenCL C
    .language_version:
      - 2
      - 0
    .max_flat_workgroup_size: 256
    .name:           _ZN9rocsolver6v33100L18lasyf_kernel_lowerI19rocblas_complex_numIdEPS3_EEviiPiT0_iilS5_lS5_PT_
    .private_segment_fixed_size: 40
    .sgpr_count:     94
    .sgpr_spill_count: 0
    .symbol:         _ZN9rocsolver6v33100L18lasyf_kernel_lowerI19rocblas_complex_numIdEPS3_EEviiPiT0_iilS5_lS5_PT_.kd
    .uniform_work_group_size: 1
    .uses_dynamic_stack: false
    .vgpr_count:     62
    .vgpr_spill_count: 0
    .wavefront_size: 64
amdhsa.target:   amdgcn-amd-amdhsa--gfx90a
amdhsa.version:
  - 1
  - 2
...

	.end_amdgpu_metadata
